;; amdgpu-corpus repo=ROCm/rocFFT kind=compiled arch=gfx906 opt=O3
	.text
	.amdgcn_target "amdgcn-amd-amdhsa--gfx906"
	.amdhsa_code_object_version 6
	.protected	bluestein_single_fwd_len1573_dim1_dp_op_CI_CI ; -- Begin function bluestein_single_fwd_len1573_dim1_dp_op_CI_CI
	.globl	bluestein_single_fwd_len1573_dim1_dp_op_CI_CI
	.p2align	8
	.type	bluestein_single_fwd_len1573_dim1_dp_op_CI_CI,@function
bluestein_single_fwd_len1573_dim1_dp_op_CI_CI: ; @bluestein_single_fwd_len1573_dim1_dp_op_CI_CI
; %bb.0:
	s_mov_b64 s[54:55], s[2:3]
	s_mov_b64 s[52:53], s[0:1]
	s_load_dwordx4 s[0:3], s[4:5], 0x28
	v_mul_u32_u24_e32 v1, 0x1cb, v0
	v_add_u32_sdwa v250, s6, v1 dst_sel:DWORD dst_unused:UNUSED_PAD src0_sel:DWORD src1_sel:WORD_1
	v_mov_b32_e32 v251, 0
	s_add_u32 s52, s52, s7
	s_waitcnt lgkmcnt(0)
	v_cmp_gt_u64_e32 vcc, s[0:1], v[250:251]
	s_addc_u32 s53, s53, 0
	s_and_saveexec_b64 s[0:1], vcc
	s_cbranch_execz .LBB0_15
; %bb.1:
	s_load_dwordx2 s[14:15], s[4:5], 0x0
	s_load_dwordx2 s[12:13], s[4:5], 0x38
	s_movk_i32 s0, 0x8f
	v_mul_lo_u16_sdwa v1, v1, s0 dst_sel:DWORD dst_unused:UNUSED_PAD src0_sel:WORD_1 src1_sel:DWORD
	v_sub_u16_e32 v204, v0, v1
	s_movk_i32 s0, 0x79
	v_cmp_gt_u16_e64 s[0:1], s0, v204
	v_lshlrev_b32_e32 v203, 4, v204
	s_and_saveexec_b64 s[6:7], s[0:1]
	s_cbranch_execz .LBB0_3
; %bb.2:
	s_load_dwordx2 s[8:9], s[4:5], 0x18
	s_waitcnt lgkmcnt(0)
	s_load_dwordx4 s[8:11], s[8:9], 0x0
	s_waitcnt lgkmcnt(0)
	v_mad_u64_u32 v[0:1], s[16:17], s10, v250, 0
	v_mad_u64_u32 v[2:3], s[16:17], s8, v204, 0
	;; [unrolled: 1-line block ×4, first 2 shown]
	v_mov_b32_e32 v1, v4
	v_lshlrev_b64 v[0:1], 4, v[0:1]
	v_mov_b32_e32 v3, v5
	v_mov_b32_e32 v6, s3
	v_lshlrev_b64 v[2:3], 4, v[2:3]
	v_add_co_u32_e32 v0, vcc, s2, v0
	v_addc_co_u32_e32 v1, vcc, v6, v1, vcc
	v_add_co_u32_e32 v16, vcc, v0, v2
	v_addc_co_u32_e32 v17, vcc, v1, v3, vcc
	v_mov_b32_e32 v0, s15
	v_add_co_u32_e32 v94, vcc, s14, v203
	s_mul_i32 s2, s9, 0x790
	s_mul_hi_u32 s3, s8, 0x790
	v_addc_co_u32_e32 v95, vcc, 0, v0, vcc
	s_add_i32 s2, s3, s2
	s_mul_i32 s3, s8, 0x790
	v_mov_b32_e32 v0, s2
	v_add_co_u32_e32 v18, vcc, s3, v16
	v_addc_co_u32_e32 v19, vcc, v17, v0, vcc
	global_load_dwordx4 v[0:3], v[16:17], off
	global_load_dwordx4 v[4:7], v[18:19], off
	global_load_dwordx4 v[8:11], v203, s[14:15]
	global_load_dwordx4 v[12:15], v203, s[14:15] offset:1936
	v_mov_b32_e32 v16, s2
	v_add_co_u32_e32 v28, vcc, s3, v18
	v_addc_co_u32_e32 v29, vcc, v19, v16, vcc
	v_mov_b32_e32 v20, s2
	v_add_co_u32_e32 v30, vcc, s3, v28
	v_addc_co_u32_e32 v31, vcc, v29, v20, vcc
	s_movk_i32 s8, 0x1000
	v_add_co_u32_e32 v40, vcc, s8, v94
	v_addc_co_u32_e32 v41, vcc, 0, v95, vcc
	global_load_dwordx4 v[16:19], v203, s[14:15] offset:3872
	global_load_dwordx4 v[20:23], v[28:29], off
	global_load_dwordx4 v[24:27], v[30:31], off
	v_mov_b32_e32 v28, s2
	v_add_co_u32_e32 v42, vcc, s3, v30
	v_addc_co_u32_e32 v43, vcc, v31, v28, vcc
	global_load_dwordx4 v[28:31], v[42:43], off
	global_load_dwordx4 v[32:35], v[40:41], off offset:1712
	global_load_dwordx4 v[36:39], v[40:41], off offset:3648
	v_mov_b32_e32 v40, s2
	v_add_co_u32_e32 v44, vcc, s3, v42
	v_addc_co_u32_e32 v45, vcc, v43, v40, vcc
	s_movk_i32 s8, 0x2000
	v_add_co_u32_e32 v56, vcc, s8, v94
	v_addc_co_u32_e32 v57, vcc, 0, v95, vcc
	v_mov_b32_e32 v46, s2
	v_add_co_u32_e32 v58, vcc, s3, v44
	v_addc_co_u32_e32 v59, vcc, v45, v46, vcc
	global_load_dwordx4 v[40:43], v[44:45], off
	s_nop 0
	global_load_dwordx4 v[44:47], v[58:59], off
	global_load_dwordx4 v[48:51], v[56:57], off offset:1488
	global_load_dwordx4 v[52:55], v[56:57], off offset:3424
	v_mov_b32_e32 v56, s2
	v_add_co_u32_e32 v60, vcc, s3, v58
	v_addc_co_u32_e32 v61, vcc, v59, v56, vcc
	s_movk_i32 s8, 0x3000
	v_add_co_u32_e32 v72, vcc, s8, v94
	v_addc_co_u32_e32 v73, vcc, 0, v95, vcc
	v_mov_b32_e32 v62, s2
	v_add_co_u32_e32 v74, vcc, s3, v60
	v_addc_co_u32_e32 v75, vcc, v61, v62, vcc
	global_load_dwordx4 v[56:59], v[60:61], off
	s_nop 0
	;; [unrolled: 14-line block ×3, first 2 shown]
	global_load_dwordx4 v[76:79], v[90:91], off
	global_load_dwordx4 v[80:83], v[88:89], off offset:1040
	global_load_dwordx4 v[84:87], v[88:89], off offset:2976
	v_mov_b32_e32 v88, s2
	v_add_co_u32_e32 v92, vcc, s3, v90
	v_addc_co_u32_e32 v93, vcc, v91, v88, vcc
	s_movk_i32 s8, 0x5000
	v_add_co_u32_e32 v104, vcc, s8, v94
	v_addc_co_u32_e32 v105, vcc, 0, v95, vcc
	global_load_dwordx4 v[88:91], v[92:93], off
	v_mov_b32_e32 v94, s2
	v_add_co_u32_e32 v106, vcc, s3, v92
	v_addc_co_u32_e32 v107, vcc, v93, v94, vcc
	global_load_dwordx4 v[92:95], v[104:105], off offset:816
	global_load_dwordx4 v[96:99], v[106:107], off
	global_load_dwordx4 v[100:103], v[104:105], off offset:2752
	s_waitcnt vmcnt(23)
	v_mul_f64 v[104:105], v[2:3], v[10:11]
	v_mul_f64 v[10:11], v[0:1], v[10:11]
	v_fma_f64 v[0:1], v[0:1], v[8:9], v[104:105]
	v_fma_f64 v[2:3], v[2:3], v[8:9], -v[10:11]
	s_waitcnt vmcnt(22)
	v_mul_f64 v[8:9], v[6:7], v[14:15]
	v_mul_f64 v[10:11], v[4:5], v[14:15]
	s_waitcnt vmcnt(20)
	v_mul_f64 v[14:15], v[22:23], v[18:19]
	v_mul_f64 v[18:19], v[20:21], v[18:19]
	;; [unrolled: 3-line block ×4, first 2 shown]
	v_fma_f64 v[4:5], v[4:5], v[12:13], v[8:9]
	v_fma_f64 v[6:7], v[6:7], v[12:13], -v[10:11]
	v_fma_f64 v[8:9], v[20:21], v[16:17], v[14:15]
	v_fma_f64 v[10:11], v[22:23], v[16:17], -v[18:19]
	;; [unrolled: 2-line block ×4, first 2 shown]
	ds_write_b128 v203, v[0:3]
	ds_write_b128 v203, v[4:7] offset:1936
	ds_write_b128 v203, v[8:11] offset:3872
	;; [unrolled: 1-line block ×4, first 2 shown]
	s_waitcnt vmcnt(13)
	v_mul_f64 v[0:1], v[42:43], v[50:51]
	v_mul_f64 v[2:3], v[40:41], v[50:51]
	s_waitcnt vmcnt(12)
	v_mul_f64 v[4:5], v[46:47], v[54:55]
	v_mul_f64 v[6:7], v[44:45], v[54:55]
	v_fma_f64 v[0:1], v[40:41], v[48:49], v[0:1]
	v_fma_f64 v[2:3], v[42:43], v[48:49], -v[2:3]
	v_fma_f64 v[4:5], v[44:45], v[52:53], v[4:5]
	v_fma_f64 v[6:7], v[46:47], v[52:53], -v[6:7]
	s_waitcnt vmcnt(9)
	v_mul_f64 v[8:9], v[58:59], v[66:67]
	v_mul_f64 v[10:11], v[56:57], v[66:67]
	s_waitcnt vmcnt(8)
	v_mul_f64 v[12:13], v[62:63], v[70:71]
	v_mul_f64 v[14:15], v[60:61], v[70:71]
	v_fma_f64 v[8:9], v[56:57], v[64:65], v[8:9]
	v_fma_f64 v[10:11], v[58:59], v[64:65], -v[10:11]
	v_fma_f64 v[12:13], v[60:61], v[68:69], v[12:13]
	v_fma_f64 v[14:15], v[62:63], v[68:69], -v[14:15]
	;; [unrolled: 10-line block ×4, first 2 shown]
	ds_write_b128 v203, v[0:3] offset:9680
	ds_write_b128 v203, v[4:7] offset:11616
	;; [unrolled: 1-line block ×8, first 2 shown]
.LBB0_3:
	s_or_b64 exec, exec, s[6:7]
	s_load_dwordx2 s[6:7], s[4:5], 0x20
	s_load_dwordx2 s[2:3], s[4:5], 0x8
	s_waitcnt lgkmcnt(0)
	s_barrier
	s_waitcnt lgkmcnt(0)
                                        ; implicit-def: $vgpr8_vgpr9
                                        ; implicit-def: $vgpr12_vgpr13
                                        ; implicit-def: $vgpr16_vgpr17
                                        ; implicit-def: $vgpr20_vgpr21
                                        ; implicit-def: $vgpr24_vgpr25
                                        ; implicit-def: $vgpr28_vgpr29
                                        ; implicit-def: $vgpr32_vgpr33
                                        ; implicit-def: $vgpr36_vgpr37
                                        ; implicit-def: $vgpr40_vgpr41
                                        ; implicit-def: $vgpr44_vgpr45
                                        ; implicit-def: $vgpr48_vgpr49
                                        ; implicit-def: $vgpr52_vgpr53
                                        ; implicit-def: $vgpr56_vgpr57
	s_and_saveexec_b64 s[4:5], s[0:1]
	s_cbranch_execz .LBB0_5
; %bb.4:
	ds_read_b128 v[8:11], v203
	ds_read_b128 v[12:15], v203 offset:1936
	ds_read_b128 v[16:19], v203 offset:3872
	;; [unrolled: 1-line block ×12, first 2 shown]
.LBB0_5:
	s_or_b64 exec, exec, s[4:5]
	s_waitcnt lgkmcnt(0)
	v_add_f64 v[100:101], v[14:15], -v[58:59]
	s_mov_b32 s22, 0x4267c47c
	s_mov_b32 s23, 0xbfddbe06
	v_add_f64 v[64:65], v[12:13], v[56:57]
	v_add_f64 v[108:109], v[18:19], -v[54:55]
	s_mov_b32 s4, 0xe00740e9
	s_mov_b32 s10, 0x42a4c3d2
	;; [unrolled: 1-line block ×3, first 2 shown]
	v_mul_f64 v[66:67], v[100:101], s[22:23]
	s_mov_b32 s11, 0xbfea55e2
	v_add_f64 v[74:75], v[16:17], v[52:53]
	v_add_f64 v[124:125], v[22:23], -v[50:51]
	v_mul_f64 v[68:69], v[108:109], s[10:11]
	s_mov_b32 s8, 0x1ea71119
	s_mov_b32 s26, 0x66966769
	;; [unrolled: 1-line block ×3, first 2 shown]
	v_fma_f64 v[0:1], v[64:65], s[4:5], v[66:67]
	s_mov_b32 s27, 0xbfefc445
	v_add_f64 v[80:81], v[20:21], v[48:49]
	v_mul_f64 v[76:77], v[124:125], s[26:27]
	v_fma_f64 v[4:5], v[74:75], s[8:9], v[68:69]
	v_add_f64 v[145:146], v[26:27], -v[46:47]
	s_mov_b32 s34, 0x2ef20147
	s_mov_b32 s18, 0xebaa3ed8
	v_add_f64 v[0:1], v[8:9], v[0:1]
	s_mov_b32 s35, 0xbfedeba7
	s_mov_b32 s19, 0x3fbedb7d
	v_add_f64 v[90:91], v[12:13], -v[56:57]
	v_add_f64 v[88:89], v[24:25], v[44:45]
	v_mul_f64 v[82:83], v[145:146], s[34:35]
	s_mov_b32 s16, 0xb2365da1
	s_mov_b32 s17, 0xbfd6b1d8
	v_add_f64 v[0:1], v[4:5], v[0:1]
	v_fma_f64 v[4:5], v[80:81], s[18:19], v[76:77]
	v_add_f64 v[104:105], v[14:15], v[58:59]
	v_add_f64 v[96:97], v[16:17], -v[52:53]
	v_mul_f64 v[72:73], v[90:91], s[22:23]
	v_mul_f64 v[102:103], v[100:101], s[10:11]
	v_mul_f64 v[183:184], v[90:91], s[10:11]
	v_add_f64 v[126:127], v[18:19], v[54:55]
	v_add_f64 v[86:87], v[20:21], -v[48:49]
	v_add_f64 v[0:1], v[4:5], v[0:1]
	v_fma_f64 v[4:5], v[88:89], s[16:17], v[82:83]
	v_mul_f64 v[70:71], v[96:97], s[10:11]
	v_fma_f64 v[2:3], v[104:105], s[4:5], -v[72:73]
	v_mul_f64 v[110:111], v[108:109], s[34:35]
	v_fma_f64 v[60:61], v[104:105], s[8:9], -v[183:184]
	v_mul_f64 v[132:133], v[96:97], s[34:35]
	s_mov_b32 s40, 0x4bc48dbf
	s_mov_b32 s41, 0xbfcea1e5
	v_add_f64 v[0:1], v[4:5], v[0:1]
	v_fma_f64 v[4:5], v[64:65], s[8:9], v[102:103]
	v_fma_f64 v[6:7], v[126:127], s[8:9], -v[70:71]
	v_add_f64 v[2:3], v[10:11], v[2:3]
	v_add_f64 v[130:131], v[22:23], v[50:51]
	v_mul_f64 v[78:79], v[86:87], s[26:27]
	v_add_f64 v[92:93], v[24:25], -v[44:45]
	v_fma_f64 v[114:115], v[74:75], s[16:17], v[110:111]
	v_add_f64 v[60:61], v[10:11], v[60:61]
	v_add_f64 v[4:5], v[8:9], v[4:5]
	v_fma_f64 v[116:117], v[126:127], s[16:17], -v[132:133]
	v_mul_f64 v[112:113], v[124:125], s[40:41]
	v_mul_f64 v[134:135], v[86:87], s[40:41]
	s_mov_b32 s36, 0x24c2f84
	s_mov_b32 s30, 0x93053d00
	;; [unrolled: 1-line block ×4, first 2 shown]
	v_add_f64 v[2:3], v[6:7], v[2:3]
	v_fma_f64 v[6:7], v[130:131], s[18:19], -v[78:79]
	v_add_f64 v[157:158], v[26:27], v[46:47]
	v_mul_f64 v[84:85], v[92:93], s[34:35]
	v_add_f64 v[177:178], v[30:31], -v[42:43]
	v_add_f64 v[128:129], v[28:29], -v[40:41]
	v_add_f64 v[4:5], v[114:115], v[4:5]
	v_add_f64 v[60:61], v[116:117], v[60:61]
	v_fma_f64 v[116:117], v[80:81], s[30:31], v[112:113]
	v_fma_f64 v[118:119], v[130:131], s[30:31], -v[134:135]
	v_mul_f64 v[114:115], v[145:146], s[36:37]
	v_mul_f64 v[136:137], v[92:93], s[36:37]
	s_mov_b32 s28, 0xd0032e0c
	s_mov_b32 s25, 0xbfe5384d
	;; [unrolled: 1-line block ×6, first 2 shown]
	v_add_f64 v[94:95], v[28:29], v[40:41]
	v_mul_f64 v[98:99], v[177:178], s[24:25]
	v_add_f64 v[2:3], v[6:7], v[2:3]
	v_fma_f64 v[6:7], v[157:158], s[16:17], -v[84:85]
	v_add_f64 v[199:200], v[30:31], v[42:43]
	v_mul_f64 v[106:107], v[128:129], s[24:25]
	v_add_f64 v[197:198], v[34:35], -v[38:39]
	v_add_f64 v[138:139], v[32:33], -v[36:37]
	v_add_f64 v[4:5], v[116:117], v[4:5]
	v_add_f64 v[60:61], v[118:119], v[60:61]
	v_fma_f64 v[122:123], v[88:89], s[28:29], v[114:115]
	v_fma_f64 v[147:148], v[157:158], s[28:29], -v[136:137]
	v_mul_f64 v[120:121], v[177:178], s[44:45]
	v_mul_f64 v[142:143], v[128:129], s[44:45]
	s_mov_b32 s39, 0x3fddbe06
	s_mov_b32 s38, s22
	v_fma_f64 v[62:63], v[94:95], s[28:29], v[98:99]
	v_add_f64 v[2:3], v[6:7], v[2:3]
	v_fma_f64 v[6:7], v[199:200], s[28:29], -v[106:107]
	v_add_f64 v[140:141], v[32:33], v[36:37]
	v_mul_f64 v[116:117], v[197:198], s[40:41]
	v_add_f64 v[201:202], v[34:35], v[38:39]
	v_mul_f64 v[118:119], v[138:139], s[40:41]
	v_add_f64 v[4:5], v[122:123], v[4:5]
	v_add_f64 v[60:61], v[147:148], v[60:61]
	v_fma_f64 v[149:150], v[94:95], s[18:19], v[120:121]
	v_fma_f64 v[151:152], v[199:200], s[18:19], -v[142:143]
	v_mul_f64 v[122:123], v[197:198], s[38:39]
	v_mul_f64 v[147:148], v[138:139], s[38:39]
	v_add_f64 v[0:1], v[62:63], v[0:1]
	v_add_f64 v[2:3], v[6:7], v[2:3]
	v_fma_f64 v[6:7], v[140:141], s[30:31], v[116:117]
	v_fma_f64 v[62:63], v[201:202], s[30:31], -v[118:119]
	v_add_f64 v[149:150], v[149:150], v[4:5]
	v_add_f64 v[60:61], v[151:152], v[60:61]
	v_fma_f64 v[151:152], v[140:141], s[4:5], v[122:123]
	v_fma_f64 v[153:154], v[201:202], s[4:5], -v[147:148]
	v_mul_lo_u16_e32 v205, 13, v204
	v_add_f64 v[4:5], v[6:7], v[0:1]
	v_add_f64 v[6:7], v[62:63], v[2:3]
	s_barrier
	v_add_f64 v[0:1], v[151:152], v[149:150]
	v_add_f64 v[2:3], v[153:154], v[60:61]
	s_and_saveexec_b64 s[20:21], s[0:1]
	s_cbranch_execz .LBB0_7
; %bb.6:
	v_mul_f64 v[60:61], v[104:105], s[30:31]
	v_mul_f64 v[206:207], v[100:101], s[40:41]
	s_mov_b32 s47, 0x3fcea1e5
	s_mov_b32 s46, s40
	v_mul_f64 v[62:63], v[126:127], s[4:5]
	v_mul_f64 v[214:215], v[108:109], s[38:39]
	;; [unrolled: 1-line block ×4, first 2 shown]
	v_fma_f64 v[208:209], v[90:91], s[46:47], v[60:61]
	v_fma_f64 v[216:217], v[64:65], s[30:31], v[206:207]
	;; [unrolled: 1-line block ×3, first 2 shown]
	s_mov_b32 s49, 0x3fea55e2
	v_fma_f64 v[218:219], v[96:97], s[22:23], v[62:63]
	v_fma_f64 v[228:229], v[74:75], s[4:5], v[214:215]
	s_mov_b32 s48, s10
	v_mul_f64 v[224:225], v[157:158], s[8:9]
	v_add_f64 v[208:209], v[10:11], v[208:209]
	v_add_f64 v[216:217], v[8:9], v[216:217]
	v_fma_f64 v[230:231], v[86:87], s[36:37], v[212:213]
	v_fma_f64 v[232:233], v[80:81], s[28:29], v[226:227]
	;; [unrolled: 1-line block ×3, first 2 shown]
	v_add_f64 v[60:61], v[10:11], v[60:61]
	v_mul_f64 v[220:221], v[199:200], s[16:17]
	v_fma_f64 v[212:213], v[86:87], s[24:25], v[212:213]
	v_add_f64 v[208:209], v[218:219], v[208:209]
	v_mul_f64 v[218:219], v[145:146], s[48:49]
	v_add_f64 v[216:217], v[228:229], v[216:217]
	v_fma_f64 v[228:229], v[92:93], s[10:11], v[224:225]
	s_mov_b32 s43, 0x3fedeba7
	v_add_f64 v[60:61], v[62:63], v[60:61]
	s_mov_b32 s42, s34
	v_fma_f64 v[206:207], v[64:65], s[30:31], -v[206:207]
	v_add_f64 v[208:209], v[230:231], v[208:209]
	v_mul_f64 v[230:231], v[177:178], s[34:35]
	v_fma_f64 v[234:235], v[88:89], s[8:9], v[218:219]
	v_add_f64 v[216:217], v[232:233], v[216:217]
	v_fma_f64 v[232:233], v[128:129], s[42:43], v[220:221]
	v_fma_f64 v[224:225], v[92:93], s[48:49], v[224:225]
	v_add_f64 v[60:61], v[212:213], v[60:61]
	v_mul_f64 v[210:211], v[201:202], s[18:19]
	v_add_f64 v[62:63], v[228:229], v[208:209]
	v_mul_f64 v[208:209], v[197:198], s[44:45]
	v_fma_f64 v[228:229], v[94:95], s[16:17], v[230:231]
	v_add_f64 v[216:217], v[234:235], v[216:217]
	v_fma_f64 v[214:215], v[74:75], s[4:5], -v[214:215]
	v_add_f64 v[206:207], v[8:9], v[206:207]
	v_fma_f64 v[220:221], v[128:129], s[34:35], v[220:221]
	v_add_f64 v[224:225], v[224:225], v[60:61]
	v_add_f64 v[62:63], v[232:233], v[62:63]
	v_fma_f64 v[212:213], v[140:141], s[18:19], v[208:209]
	v_mul_f64 v[232:233], v[104:105], s[28:29]
	v_add_f64 v[216:217], v[228:229], v[216:217]
	v_fma_f64 v[234:235], v[138:139], s[26:27], v[210:211]
	v_fma_f64 v[226:227], v[80:81], s[28:29], -v[226:227]
	v_add_f64 v[206:207], v[214:215], v[206:207]
	v_add_f64 v[214:215], v[220:221], v[224:225]
	v_fma_f64 v[224:225], v[140:141], s[18:19], -v[208:209]
	v_mul_f64 v[240:241], v[157:158], s[30:31]
	v_fma_f64 v[220:221], v[90:91], s[36:37], v[232:233]
	v_add_f64 v[60:61], v[212:213], v[216:217]
	v_mul_f64 v[212:213], v[100:101], s[24:25]
	v_fma_f64 v[216:217], v[88:89], s[8:9], -v[218:219]
	v_mul_f64 v[218:219], v[126:127], s[18:19]
	v_add_f64 v[62:63], v[234:235], v[62:63]
	v_add_f64 v[206:207], v[226:227], v[206:207]
	v_mul_f64 v[226:227], v[108:109], s[44:45]
	v_mul_f64 v[234:235], v[130:131], s[8:9]
	v_add_f64 v[220:221], v[10:11], v[220:221]
	v_fma_f64 v[208:209], v[64:65], s[28:29], v[212:213]
	v_fma_f64 v[232:233], v[90:91], s[24:25], v[232:233]
	;; [unrolled: 1-line block ×3, first 2 shown]
	v_mul_f64 v[244:245], v[145:146], s[46:47]
	v_add_f64 v[206:207], v[216:217], v[206:207]
	v_mul_f64 v[216:217], v[124:125], s[10:11]
	v_fma_f64 v[238:239], v[74:75], s[18:19], v[226:227]
	v_fma_f64 v[242:243], v[86:87], s[48:49], v[234:235]
	v_add_f64 v[208:209], v[8:9], v[208:209]
	v_fma_f64 v[218:219], v[96:97], s[44:45], v[218:219]
	v_add_f64 v[220:221], v[236:237], v[220:221]
	v_mul_f64 v[236:237], v[199:200], s[4:5]
	v_add_f64 v[232:233], v[10:11], v[232:233]
	v_fma_f64 v[246:247], v[80:81], s[8:9], v[216:217]
	v_fma_f64 v[210:211], v[138:139], s[44:45], v[210:211]
	v_fma_f64 v[230:231], v[94:95], s[16:17], -v[230:231]
	v_add_f64 v[208:209], v[238:239], v[208:209]
	v_fma_f64 v[238:239], v[92:93], s[40:41], v[240:241]
	v_add_f64 v[220:221], v[242:243], v[220:221]
	v_mul_f64 v[242:243], v[201:202], s[16:17]
	v_mul_f64 v[248:249], v[177:178], s[38:39]
	v_mov_b32_e32 v144, v250
	v_fma_f64 v[250:251], v[88:89], s[30:31], v[244:245]
	v_fma_f64 v[234:235], v[86:87], s[10:11], v[234:235]
	v_add_f64 v[208:209], v[246:247], v[208:209]
	v_add_f64 v[218:219], v[218:219], v[232:233]
	v_fma_f64 v[232:233], v[128:129], s[22:23], v[236:237]
	v_add_f64 v[220:221], v[238:239], v[220:221]
	v_add_f64 v[206:207], v[230:231], v[206:207]
	v_mul_f64 v[230:231], v[197:198], s[34:35]
	v_fma_f64 v[238:239], v[94:95], s[4:5], v[248:249]
	v_fma_f64 v[240:241], v[92:93], s[46:47], v[240:241]
	v_add_f64 v[246:247], v[250:251], v[208:209]
	v_add_f64 v[218:219], v[234:235], v[218:219]
	v_fma_f64 v[234:235], v[138:139], s[42:43], v[242:243]
	v_add_f64 v[220:221], v[232:233], v[220:221]
	v_add_f64 v[208:209], v[210:211], v[214:215]
	v_fma_f64 v[214:215], v[64:65], s[28:29], -v[212:213]
	v_fma_f64 v[210:211], v[140:141], s[16:17], v[230:231]
	v_fma_f64 v[236:237], v[128:129], s[38:39], v[236:237]
	v_add_f64 v[232:233], v[238:239], v[246:247]
	v_add_f64 v[218:219], v[240:241], v[218:219]
	;; [unrolled: 1-line block ×4, first 2 shown]
	v_fma_f64 v[220:221], v[74:75], s[18:19], -v[226:227]
	v_mul_f64 v[224:225], v[104:105], s[16:17]
	v_add_f64 v[214:215], v[8:9], v[214:215]
	v_fma_f64 v[216:217], v[80:81], s[8:9], -v[216:217]
	v_add_f64 v[210:211], v[210:211], v[232:233]
	v_add_f64 v[218:219], v[236:237], v[218:219]
	v_mul_f64 v[232:233], v[100:101], s[34:35]
	v_mul_f64 v[234:235], v[126:127], s[28:29]
	v_fma_f64 v[226:227], v[138:139], s[34:35], v[242:243]
	v_fma_f64 v[236:237], v[90:91], s[42:43], v[224:225]
	v_add_f64 v[214:215], v[220:221], v[214:215]
	v_fma_f64 v[220:221], v[140:141], s[16:17], -v[230:231]
	v_fma_f64 v[230:231], v[88:89], s[30:31], -v[244:245]
	v_mul_f64 v[238:239], v[130:131], s[4:5]
	v_mul_f64 v[240:241], v[108:109], s[36:37]
	v_fma_f64 v[242:243], v[64:65], s[16:17], v[232:233]
	v_fma_f64 v[244:245], v[96:97], s[24:25], v[234:235]
	v_add_f64 v[236:237], v[10:11], v[236:237]
	v_add_f64 v[214:215], v[216:217], v[214:215]
	v_fma_f64 v[224:225], v[90:91], s[34:35], v[224:225]
	v_mul_f64 v[216:217], v[157:158], s[18:19]
	v_mul_f64 v[246:247], v[124:125], s[38:39]
	v_fma_f64 v[250:251], v[74:75], s[28:29], v[240:241]
	v_add_f64 v[242:243], v[8:9], v[242:243]
	v_fma_f64 v[252:253], v[86:87], s[22:23], v[238:239]
	v_add_f64 v[236:237], v[244:245], v[236:237]
	v_add_f64 v[214:215], v[230:231], v[214:215]
	v_fma_f64 v[230:231], v[96:97], s[36:37], v[234:235]
	v_add_f64 v[224:225], v[10:11], v[224:225]
	v_fma_f64 v[234:235], v[92:93], s[44:45], v[216:217]
	v_fma_f64 v[244:245], v[80:81], s[4:5], v[246:247]
	v_add_f64 v[242:243], v[250:251], v[242:243]
	v_mul_f64 v[250:251], v[145:146], s[26:27]
	v_add_f64 v[236:237], v[252:253], v[236:237]
	v_mul_f64 v[252:253], v[199:200], s[30:31]
	v_fma_f64 v[248:249], v[94:95], s[4:5], -v[248:249]
	v_add_f64 v[224:225], v[230:231], v[224:225]
	v_fma_f64 v[238:239], v[86:87], s[38:39], v[238:239]
	v_mul_f64 v[230:231], v[177:178], s[46:47]
	v_add_f64 v[242:243], v[244:245], v[242:243]
	v_fma_f64 v[244:245], v[88:89], s[18:19], v[250:251]
	v_add_f64 v[234:235], v[234:235], v[236:237]
	v_fma_f64 v[236:237], v[128:129], s[40:41], v[252:253]
	v_add_f64 v[214:215], v[248:249], v[214:215]
	v_mul_f64 v[248:249], v[201:202], s[8:9]
	v_fma_f64 v[254:255], v[92:93], s[26:27], v[216:217]
	v_add_f64 v[224:225], v[238:239], v[224:225]
	v_mul_f64 v[175:176], v[104:105], s[4:5]
	v_mul_f64 v[222:223], v[104:105], s[8:9]
	v_fma_f64 v[238:239], v[94:95], s[30:31], v[230:231]
	v_add_f64 v[242:243], v[244:245], v[242:243]
	v_mul_f64 v[244:245], v[197:198], s[48:49]
	v_add_f64 v[234:235], v[236:237], v[234:235]
	v_add_f64 v[216:217], v[226:227], v[218:219]
	v_fma_f64 v[218:219], v[128:129], s[46:47], v[252:253]
	v_add_f64 v[224:225], v[254:255], v[224:225]
	v_fma_f64 v[226:227], v[138:139], s[10:11], v[248:249]
	v_mul_f64 v[104:105], v[104:105], s[18:19]
	v_mul_f64 v[171:172], v[126:127], s[8:9]
	v_mul_f64 v[193:194], v[126:127], s[16:17]
	v_add_f64 v[238:239], v[238:239], v[242:243]
	v_fma_f64 v[242:243], v[140:141], s[8:9], v[244:245]
	v_add_f64 v[214:215], v[220:221], v[214:215]
	v_fma_f64 v[248:249], v[138:139], s[48:49], v[248:249]
	v_fma_f64 v[232:233], v[64:65], s[16:17], -v[232:233]
	v_add_f64 v[224:225], v[218:219], v[224:225]
	v_add_f64 v[220:221], v[226:227], v[234:235]
	v_mul_f64 v[126:127], v[126:127], s[30:31]
	v_fma_f64 v[234:235], v[90:91], s[44:45], v[104:105]
	v_fma_f64 v[90:91], v[90:91], s[26:27], v[104:105]
	v_add_f64 v[14:15], v[10:11], v[14:15]
	v_add_f64 v[12:13], v[8:9], v[12:13]
	v_mul_f64 v[161:162], v[130:131], s[18:19]
	v_mul_f64 v[191:192], v[130:131], s[30:31]
	v_add_f64 v[218:219], v[242:243], v[238:239]
	v_mul_f64 v[226:227], v[100:101], s[26:27]
	v_fma_f64 v[238:239], v[74:75], s[28:29], -v[240:241]
	v_add_f64 v[232:233], v[8:9], v[232:233]
	v_add_f64 v[100:101], v[248:249], v[224:225]
	v_mul_f64 v[130:131], v[130:131], s[16:17]
	v_fma_f64 v[224:225], v[96:97], s[46:47], v[126:127]
	v_fma_f64 v[96:97], v[96:97], s[40:41], v[126:127]
	v_add_f64 v[90:91], v[10:11], v[90:91]
	v_add_f64 v[183:184], v[183:184], v[222:223]
	;; [unrolled: 1-line block ×4, first 2 shown]
	v_mul_f64 v[165:166], v[64:65], s[4:5]
	v_mul_f64 v[169:170], v[64:65], s[8:9]
	v_mul_f64 v[153:154], v[157:158], s[16:17]
	v_mul_f64 v[187:188], v[157:158], s[28:29]
	v_mul_f64 v[108:109], v[108:109], s[40:41]
	v_fma_f64 v[240:241], v[64:65], s[18:19], v[226:227]
	v_add_f64 v[232:233], v[238:239], v[232:233]
	v_mul_f64 v[157:158], v[157:158], s[4:5]
	v_fma_f64 v[238:239], v[86:87], s[34:35], v[130:131]
	v_fma_f64 v[86:87], v[86:87], s[42:43], v[130:131]
	v_fma_f64 v[64:65], v[64:65], s[18:19], -v[226:227]
	v_add_f64 v[90:91], v[96:97], v[90:91]
	v_add_f64 v[96:97], v[132:133], v[193:194]
	;; [unrolled: 1-line block ×5, first 2 shown]
	v_mul_f64 v[163:164], v[74:75], s[8:9]
	v_mul_f64 v[173:174], v[74:75], s[16:17]
	;; [unrolled: 1-line block ×4, first 2 shown]
	v_fma_f64 v[242:243], v[80:81], s[4:5], -v[246:247]
	v_mul_f64 v[124:125], v[124:125], s[42:43]
	v_fma_f64 v[246:247], v[74:75], s[30:31], v[108:109]
	v_mul_f64 v[199:200], v[199:200], s[8:9]
	v_fma_f64 v[16:17], v[92:93], s[38:39], v[157:158]
	v_fma_f64 v[18:19], v[74:75], s[30:31], -v[108:109]
	v_add_f64 v[64:65], v[8:9], v[64:65]
	v_add_f64 v[74:75], v[86:87], v[90:91]
	;; [unrolled: 1-line block ×6, first 2 shown]
	v_fma_f64 v[20:21], v[128:129], s[10:11], v[199:200]
	v_fma_f64 v[22:23], v[80:81], s[16:17], -v[124:125]
	v_add_f64 v[18:19], v[18:19], v[64:65]
	v_add_f64 v[16:17], v[16:17], v[74:75]
	;; [unrolled: 1-line block ×6, first 2 shown]
	v_mul_f64 v[155:156], v[80:81], s[18:19]
	v_add_f64 v[234:235], v[10:11], v[234:235]
	v_add_f64 v[18:19], v[22:23], v[18:19]
	;; [unrolled: 1-line block ×8, first 2 shown]
	v_add_f64 v[32:33], v[169:170], -v[102:103]
	v_mul_f64 v[167:168], v[80:81], s[30:31]
	v_add_f64 v[240:241], v[8:9], v[240:241]
	v_add_f64 v[34:35], v[173:174], -v[110:111]
	v_add_f64 v[20:21], v[20:21], v[22:23]
	v_add_f64 v[22:23], v[165:166], -v[66:67]
	v_add_f64 v[14:15], v[14:15], v[38:39]
	v_add_f64 v[12:13], v[12:13], v[36:37]
	v_add_f64 v[66:67], v[70:71], v[171:172]
	v_add_f64 v[10:11], v[10:11], v[64:65]
	v_add_f64 v[64:65], v[163:164], -v[68:69]
	v_mul_f64 v[151:152], v[88:89], s[16:17]
	v_add_f64 v[36:37], v[78:79], v[161:162]
	v_add_f64 v[22:23], v[8:9], v[22:23]
	;; [unrolled: 1-line block ×6, first 2 shown]
	v_add_f64 v[38:39], v[155:156], -v[76:77]
	v_mul_f64 v[159:160], v[88:89], s[28:29]
	v_add_f64 v[32:33], v[167:168], -v[112:113]
	v_add_f64 v[22:23], v[64:65], v[22:23]
	v_add_f64 v[8:9], v[34:35], v[8:9]
	v_mul_f64 v[145:146], v[145:146], s[38:39]
	v_add_f64 v[224:225], v[224:225], v[234:235]
	v_fma_f64 v[234:235], v[88:89], s[18:19], -v[250:251]
	v_add_f64 v[232:233], v[242:243], v[232:233]
	v_fma_f64 v[248:249], v[80:81], s[16:17], v[124:125]
	v_add_f64 v[240:241], v[246:247], v[240:241]
	v_add_f64 v[14:15], v[14:15], v[46:47]
	;; [unrolled: 1-line block ×3, first 2 shown]
	v_mul_f64 v[149:150], v[94:95], s[28:29]
	v_add_f64 v[40:41], v[84:85], v[153:154]
	v_add_f64 v[10:11], v[36:37], v[10:11]
	v_add_f64 v[36:37], v[151:152], -v[82:83]
	v_add_f64 v[22:23], v[38:39], v[22:23]
	v_mul_f64 v[181:182], v[94:95], s[18:19]
	v_add_f64 v[34:35], v[159:160], -v[114:115]
	v_add_f64 v[8:9], v[32:33], v[8:9]
	v_mul_f64 v[177:178], v[177:178], s[10:11]
	v_fma_f64 v[26:27], v[88:89], s[4:5], -v[145:146]
	v_mul_f64 v[236:237], v[201:202], s[4:5]
	v_fma_f64 v[242:243], v[92:93], s[22:23], v[157:158]
	v_add_f64 v[224:225], v[238:239], v[224:225]
	v_fma_f64 v[230:231], v[94:95], s[30:31], -v[230:231]
	v_add_f64 v[232:233], v[234:235], v[232:233]
	v_fma_f64 v[238:239], v[88:89], s[4:5], v[145:146]
	v_add_f64 v[240:241], v[248:249], v[240:241]
	v_add_f64 v[14:15], v[14:15], v[50:51]
	;; [unrolled: 1-line block ×3, first 2 shown]
	v_mul_f64 v[185:186], v[140:141], s[30:31]
	v_mul_f64 v[189:190], v[201:202], s[30:31]
	v_mul_f64 v[201:202], v[201:202], s[28:29]
	v_add_f64 v[38:39], v[106:107], v[179:180]
	v_add_f64 v[10:11], v[40:41], v[10:11]
	v_add_f64 v[40:41], v[149:150], -v[98:99]
	v_add_f64 v[22:23], v[36:37], v[22:23]
	v_mul_f64 v[228:229], v[140:141], s[4:5]
	v_add_f64 v[32:33], v[181:182], -v[120:121]
	v_add_f64 v[8:9], v[34:35], v[8:9]
	v_mul_f64 v[104:105], v[197:198], s[24:25]
	v_fma_f64 v[30:31], v[94:95], s[8:9], -v[177:178]
	v_add_f64 v[18:19], v[26:27], v[18:19]
	v_fma_f64 v[234:235], v[128:129], s[48:49], v[199:200]
	v_add_f64 v[224:225], v[242:243], v[224:225]
	v_add_f64 v[197:198], v[230:231], v[232:233]
	v_fma_f64 v[232:233], v[94:95], s[8:9], v[177:178]
	v_add_f64 v[238:239], v[238:239], v[240:241]
	v_add_f64 v[26:27], v[147:148], v[236:237]
	v_add_f64 v[44:45], v[14:15], v[54:55]
	v_add_f64 v[12:13], v[12:13], v[52:53]
	v_fma_f64 v[24:25], v[138:139], s[24:25], v[201:202]
	v_add_f64 v[36:37], v[118:119], v[189:190]
	v_add_f64 v[38:39], v[38:39], v[10:11]
	v_add_f64 v[42:43], v[185:186], -v[116:117]
	v_add_f64 v[40:41], v[40:41], v[22:23]
	v_add_f64 v[34:35], v[228:229], -v[122:123]
	v_add_f64 v[8:9], v[32:33], v[8:9]
	v_fma_f64 v[28:29], v[140:141], s[28:29], -v[104:105]
	v_add_f64 v[30:31], v[30:31], v[18:19]
	v_fma_f64 v[242:243], v[140:141], s[8:9], -v[244:245]
	v_fma_f64 v[230:231], v[138:139], s[36:37], v[201:202]
	v_add_f64 v[224:225], v[234:235], v[224:225]
	v_fma_f64 v[126:127], v[140:141], s[28:29], v[104:105]
	v_add_f64 v[222:223], v[232:233], v[238:239]
	v_add_f64 v[14:15], v[26:27], v[20:21]
	;; [unrolled: 1-line block ×10, first 2 shown]
	v_mov_b32_e32 v250, v144
	v_lshlrev_b32_e32 v28, 4, v205
	v_add_f64 v[26:27], v[230:231], v[224:225]
	v_add_f64 v[24:25], v[126:127], v[222:223]
	ds_write_b128 v28, v[20:23]
	ds_write_b128 v28, v[16:19] offset:16
	ds_write_b128 v28, v[12:15] offset:32
	;; [unrolled: 1-line block ×12, first 2 shown]
.LBB0_7:
	s_or_b64 exec, exec, s[20:21]
	s_movk_i32 s8, 0x4f
	v_mul_lo_u16_sdwa v8, v204, s8 dst_sel:DWORD dst_unused:UNUSED_PAD src0_sel:BYTE_0 src1_sel:DWORD
	v_lshrrev_b16_e32 v48, 10, v8
	v_mul_lo_u16_e32 v8, 13, v48
	v_sub_u16_e32 v8, v204, v8
	v_and_b32_e32 v49, 0xff, v8
	v_mul_u32_u24_e32 v8, 10, v49
	v_lshlrev_b32_e32 v50, 4, v8
	s_load_dwordx4 s[4:7], s[6:7], 0x0
	s_waitcnt lgkmcnt(0)
	s_barrier
	global_load_dwordx4 v[44:47], v50, s[2:3]
	global_load_dwordx4 v[36:39], v50, s[2:3] offset:16
	global_load_dwordx4 v[20:23], v50, s[2:3] offset:32
	;; [unrolled: 1-line block ×9, first 2 shown]
	ds_read_b128 v[50:53], v203
	ds_read_b128 v[54:57], v203 offset:2288
	ds_read_b128 v[58:61], v203 offset:4576
	;; [unrolled: 1-line block ×10, first 2 shown]
	s_mov_b32 s26, 0xf8bb580b
	s_mov_b32 s36, 0x8eee2c13
	s_mov_b32 s16, 0x43842ef
	s_mov_b32 s22, 0xbb3a28a1
	s_mov_b32 s28, 0xfd768dbf
	s_mov_b32 s27, 0xbfe14ced
	s_mov_b32 s37, 0xbfed1bb4
	s_mov_b32 s17, 0xbfefac9e
	s_mov_b32 s23, 0xbfe82f19
	s_mov_b32 s29, 0xbfd207e7
	s_mov_b32 s18, 0x8764f0ba
	s_mov_b32 s8, 0xd9c712b6
	s_mov_b32 s10, 0x640f44db
	s_mov_b32 s20, 0x7f775887
	s_mov_b32 s24, 0x9bcd5057
	s_mov_b32 s19, 0x3feaeb8c
	s_mov_b32 s9, 0x3fda9628
	s_mov_b32 s11, 0xbfc2375f
	s_mov_b32 s21, 0xbfe4f49e
	s_mov_b32 s25, 0xbfeeb42a
	s_mov_b32 s41, 0x3fd207e7
	s_mov_b32 s40, s28
	s_mov_b32 s39, 0x3fefac9e
	s_mov_b32 s38, s16
	s_mov_b32 s31, 0x3fe14ced
	s_mov_b32 s30, s26
	s_mov_b32 s35, 0x3fed1bb4
	s_mov_b32 s34, s36
	v_mul_u32_u24_e32 v48, 0x8f, v48
	v_add_lshl_u32 v193, v48, v49, 4
	v_mov_b32_e32 v49, s3
	s_movk_i32 s33, 0xa0
	v_mov_b32_e32 v48, s2
	s_waitcnt vmcnt(9) lgkmcnt(9)
	v_mul_f64 v[94:95], v[56:57], v[46:47]
	v_mul_f64 v[96:97], v[54:55], v[46:47]
	s_waitcnt vmcnt(8) lgkmcnt(8)
	v_mul_f64 v[98:99], v[60:61], v[38:39]
	v_mul_f64 v[100:101], v[58:59], v[38:39]
	;; [unrolled: 3-line block ×5, first 2 shown]
	v_fma_f64 v[54:55], v[54:55], v[44:45], -v[94:95]
	v_fma_f64 v[56:57], v[56:57], v[44:45], v[96:97]
	v_mul_f64 v[106:107], v[68:69], v[18:19]
	v_mul_f64 v[108:109], v[66:67], v[18:19]
	v_fma_f64 v[78:79], v[78:79], v[12:13], -v[118:119]
	buffer_store_dword v12, off, s[52:55], 0 ; 4-byte Folded Spill
	s_nop 0
	buffer_store_dword v13, off, s[52:55], 0 offset:4 ; 4-byte Folded Spill
	buffer_store_dword v14, off, s[52:55], 0 offset:8 ; 4-byte Folded Spill
	buffer_store_dword v15, off, s[52:55], 0 offset:12 ; 4-byte Folded Spill
	v_fma_f64 v[58:59], v[58:59], v[36:37], -v[98:99]
	v_fma_f64 v[60:61], v[60:61], v[36:37], v[100:101]
	v_fma_f64 v[86:87], v[86:87], v[28:29], -v[126:127]
	v_fma_f64 v[88:89], v[88:89], v[28:29], v[128:129]
	v_add_f64 v[94:95], v[50:51], v[54:55]
	v_add_f64 v[96:97], v[52:53], v[56:57]
	v_fma_f64 v[62:63], v[62:63], v[20:21], -v[102:103]
	v_fma_f64 v[64:65], v[64:65], v[20:21], v[104:105]
	v_fma_f64 v[66:67], v[66:67], v[16:17], -v[106:107]
	v_fma_f64 v[68:69], v[68:69], v[16:17], v[108:109]
	v_add_f64 v[102:103], v[58:59], v[86:87]
	v_add_f64 v[104:105], v[60:61], v[88:89]
	v_add_f64 v[106:107], v[58:59], -v[86:87]
	v_add_f64 v[108:109], v[60:61], -v[88:89]
	v_add_f64 v[58:59], v[94:95], v[58:59]
	v_add_f64 v[60:61], v[96:97], v[60:61]
	v_mul_f64 v[110:111], v[72:73], v[42:43]
	v_mul_f64 v[112:113], v[70:71], v[42:43]
	s_waitcnt vmcnt(4) lgkmcnt(0)
	v_mul_f64 v[130:131], v[92:93], v[34:35]
	v_mul_f64 v[132:133], v[90:91], v[34:35]
	;; [unrolled: 1-line block ×4, first 2 shown]
	v_add_f64 v[58:59], v[58:59], v[62:63]
	v_add_f64 v[60:61], v[60:61], v[64:65]
	v_fma_f64 v[70:71], v[70:71], v[40:41], -v[110:111]
	v_fma_f64 v[72:73], v[72:73], v[40:41], v[112:113]
	v_fma_f64 v[90:91], v[90:91], v[32:33], -v[130:131]
	v_fma_f64 v[92:93], v[92:93], v[32:33], v[132:133]
	v_fma_f64 v[74:75], v[74:75], v[24:25], -v[114:115]
	v_fma_f64 v[76:77], v[76:77], v[24:25], v[116:117]
	v_add_f64 v[58:59], v[58:59], v[66:67]
	v_add_f64 v[60:61], v[60:61], v[68:69]
	v_mul_f64 v[122:123], v[84:85], v[253:254]
	v_mul_f64 v[124:125], v[82:83], v[253:254]
	v_add_f64 v[98:99], v[54:55], v[90:91]
	v_add_f64 v[100:101], v[56:57], v[92:93]
	v_add_f64 v[56:57], v[56:57], -v[92:93]
	v_add_f64 v[54:55], v[54:55], -v[90:91]
	v_add_f64 v[58:59], v[58:59], v[70:71]
	v_add_f64 v[60:61], v[60:61], v[72:73]
	v_fma_f64 v[82:83], v[82:83], v[251:252], -v[122:123]
	v_fma_f64 v[84:85], v[84:85], v[251:252], v[124:125]
	v_mul_f64 v[126:127], v[108:109], s[22:23]
	v_mul_f64 v[128:129], v[106:107], s[22:23]
	;; [unrolled: 1-line block ×10, first 2 shown]
	v_add_f64 v[58:59], v[58:59], v[74:75]
	v_add_f64 v[60:61], v[60:61], v[76:77]
	v_fma_f64 v[130:131], v[98:99], s[18:19], -v[94:95]
	v_fma_f64 v[132:133], v[100:101], s[18:19], v[96:97]
	v_fma_f64 v[94:95], v[98:99], s[18:19], v[94:95]
	v_fma_f64 v[96:97], v[100:101], s[18:19], -v[96:97]
	v_fma_f64 v[134:135], v[98:99], s[8:9], -v[110:111]
	v_fma_f64 v[136:137], v[100:101], s[8:9], v[112:113]
	v_fma_f64 v[110:111], v[98:99], s[8:9], v[110:111]
	v_fma_f64 v[112:113], v[100:101], s[8:9], -v[112:113]
	;; [unrolled: 4-line block ×3, first 2 shown]
	v_fma_f64 v[142:143], v[98:99], s[20:21], -v[118:119]
	v_fma_f64 v[118:119], v[98:99], s[20:21], v[118:119]
	v_fma_f64 v[147:148], v[98:99], s[24:25], -v[56:57]
	v_fma_f64 v[98:99], v[98:99], s[24:25], v[56:57]
	v_mul_f64 v[122:123], v[108:109], s[36:37]
	v_mul_f64 v[124:125], v[106:107], s[36:37]
	v_add_f64 v[94:95], v[50:51], v[94:95]
	v_add_f64 v[96:97], v[52:53], v[96:97]
	;; [unrolled: 1-line block ×4, first 2 shown]
	v_fma_f64 v[80:81], v[80:81], v[12:13], v[120:121]
	v_mul_f64 v[120:121], v[54:55], s[22:23]
	v_mul_f64 v[54:55], v[54:55], s[28:29]
	v_add_f64 v[114:115], v[50:51], v[114:115]
	v_add_f64 v[116:117], v[52:53], v[116:117]
	;; [unrolled: 1-line block ×3, first 2 shown]
	v_fma_f64 v[151:152], v[102:103], s[8:9], -v[122:123]
	v_fma_f64 v[153:154], v[104:105], s[8:9], v[124:125]
	v_add_f64 v[56:57], v[60:61], v[80:81]
	v_fma_f64 v[145:146], v[100:101], s[20:21], v[120:121]
	v_fma_f64 v[120:121], v[100:101], s[20:21], -v[120:121]
	v_fma_f64 v[149:150], v[100:101], s[24:25], v[54:55]
	v_fma_f64 v[100:101], v[100:101], s[24:25], -v[54:55]
	v_add_f64 v[54:55], v[58:59], v[78:79]
	v_add_f64 v[58:59], v[50:51], v[130:131]
	;; [unrolled: 1-line block ×15, first 2 shown]
	v_mul_f64 v[100:101], v[106:107], s[40:41]
	v_add_f64 v[54:55], v[54:55], v[86:87]
	v_add_f64 v[86:87], v[50:51], v[142:143]
	v_add_f64 v[50:51], v[50:51], v[98:99]
	v_add_f64 v[56:57], v[56:57], v[92:93]
	v_fma_f64 v[92:93], v[104:105], s[20:21], v[128:129]
	v_mul_f64 v[98:99], v[108:109], s[40:41]
	v_fma_f64 v[122:123], v[102:103], s[8:9], v[122:123]
	v_fma_f64 v[124:125], v[104:105], s[8:9], -v[124:125]
	v_add_f64 v[54:55], v[54:55], v[90:91]
	v_fma_f64 v[90:91], v[102:103], s[20:21], -v[126:127]
	v_fma_f64 v[126:127], v[102:103], s[20:21], v[126:127]
	v_fma_f64 v[128:129], v[104:105], s[20:21], -v[128:129]
	v_add_f64 v[92:93], v[92:93], v[132:133]
	v_fma_f64 v[132:133], v[104:105], s[24:25], v[100:101]
	v_fma_f64 v[100:101], v[104:105], s[24:25], -v[100:101]
	v_add_f64 v[94:95], v[122:123], v[94:95]
	v_add_f64 v[96:97], v[124:125], v[96:97]
	;; [unrolled: 1-line block ×3, first 2 shown]
	v_fma_f64 v[130:131], v[102:103], s[24:25], -v[98:99]
	v_fma_f64 v[98:99], v[102:103], s[24:25], v[98:99]
	v_mul_f64 v[122:123], v[108:109], s[38:39]
	v_mul_f64 v[124:125], v[106:107], s[38:39]
	v_add_f64 v[100:101], v[100:101], v[116:117]
	v_add_f64 v[116:117], v[62:63], -v[82:83]
	v_mul_f64 v[108:109], v[108:109], s[30:31]
	v_mul_f64 v[106:107], v[106:107], s[30:31]
	v_add_f64 v[110:111], v[126:127], v[110:111]
	v_add_f64 v[98:99], v[98:99], v[114:115]
	v_add_f64 v[114:115], v[64:65], -v[84:85]
	v_fma_f64 v[142:143], v[102:103], s[10:11], -v[122:123]
	v_fma_f64 v[145:146], v[104:105], s[10:11], v[124:125]
	v_add_f64 v[112:113], v[128:129], v[112:113]
	v_add_f64 v[126:127], v[130:131], v[134:135]
	;; [unrolled: 1-line block ×3, first 2 shown]
	v_fma_f64 v[122:123], v[102:103], s[10:11], v[122:123]
	v_fma_f64 v[124:125], v[104:105], s[10:11], -v[124:125]
	v_add_f64 v[62:63], v[62:63], v[82:83]
	v_add_f64 v[64:65], v[64:65], v[84:85]
	v_mul_f64 v[82:83], v[114:115], s[16:17]
	v_mul_f64 v[84:85], v[116:117], s[16:17]
	v_fma_f64 v[130:131], v[102:103], s[18:19], -v[108:109]
	v_fma_f64 v[132:133], v[104:105], s[18:19], v[106:107]
	v_add_f64 v[58:59], v[151:152], v[58:59]
	v_add_f64 v[60:61], v[153:154], v[60:61]
	;; [unrolled: 1-line block ×4, first 2 shown]
	v_fma_f64 v[102:103], v[102:103], s[18:19], v[108:109]
	v_fma_f64 v[104:105], v[104:105], s[18:19], -v[106:107]
	v_fma_f64 v[106:107], v[62:63], s[10:11], -v[82:83]
	v_fma_f64 v[108:109], v[64:65], s[10:11], v[84:85]
	v_add_f64 v[122:123], v[130:131], v[138:139]
	v_add_f64 v[124:125], v[132:133], v[140:141]
	v_mul_f64 v[130:131], v[114:115], s[40:41]
	v_mul_f64 v[132:133], v[116:117], s[40:41]
	v_fma_f64 v[82:83], v[62:63], s[10:11], v[82:83]
	v_fma_f64 v[84:85], v[64:65], s[10:11], -v[84:85]
	v_add_f64 v[50:51], v[102:103], v[50:51]
	v_add_f64 v[52:53], v[104:105], v[52:53]
	;; [unrolled: 1-line block ×4, first 2 shown]
	v_fma_f64 v[102:103], v[62:63], s[24:25], -v[130:131]
	v_fma_f64 v[104:105], v[64:65], s[24:25], v[132:133]
	v_mul_f64 v[106:107], v[114:115], s[34:35]
	v_mul_f64 v[108:109], v[116:117], s[34:35]
	v_add_f64 v[82:83], v[82:83], v[94:95]
	v_add_f64 v[84:85], v[84:85], v[96:97]
	v_fma_f64 v[94:95], v[62:63], s[24:25], v[130:131]
	v_fma_f64 v[96:97], v[64:65], s[24:25], -v[132:133]
	v_mul_f64 v[130:131], v[114:115], s[26:27]
	v_mul_f64 v[132:133], v[116:117], s[26:27]
	v_add_f64 v[86:87], v[142:143], v[86:87]
	v_add_f64 v[88:89], v[145:146], v[88:89]
	;; [unrolled: 1-line block ×4, first 2 shown]
	v_fma_f64 v[102:103], v[62:63], s[8:9], -v[106:107]
	v_fma_f64 v[104:105], v[64:65], s[8:9], v[108:109]
	v_fma_f64 v[106:107], v[62:63], s[8:9], v[106:107]
	v_fma_f64 v[108:109], v[64:65], s[8:9], -v[108:109]
	v_add_f64 v[94:95], v[94:95], v[110:111]
	v_add_f64 v[96:97], v[96:97], v[112:113]
	v_fma_f64 v[110:111], v[62:63], s[18:19], -v[130:131]
	v_fma_f64 v[112:113], v[64:65], s[18:19], v[132:133]
	v_add_f64 v[102:103], v[102:103], v[126:127]
	v_add_f64 v[104:105], v[104:105], v[128:129]
	;; [unrolled: 1-line block ×4, first 2 shown]
	v_mul_f64 v[106:107], v[114:115], s[22:23]
	v_mul_f64 v[108:109], v[116:117], s[22:23]
	v_add_f64 v[86:87], v[110:111], v[86:87]
	v_add_f64 v[88:89], v[112:113], v[88:89]
	v_add_f64 v[110:111], v[68:69], -v[80:81]
	v_add_f64 v[112:113], v[66:67], -v[78:79]
	v_fma_f64 v[114:115], v[62:63], s[18:19], v[130:131]
	v_fma_f64 v[116:117], v[64:65], s[18:19], -v[132:133]
	v_fma_f64 v[126:127], v[62:63], s[20:21], -v[106:107]
	v_fma_f64 v[128:129], v[64:65], s[20:21], v[108:109]
	v_add_f64 v[66:67], v[66:67], v[78:79]
	v_add_f64 v[68:69], v[68:69], v[80:81]
	v_mul_f64 v[78:79], v[110:111], s[22:23]
	v_mul_f64 v[80:81], v[112:113], s[22:23]
	v_add_f64 v[114:115], v[114:115], v[118:119]
	v_add_f64 v[116:117], v[116:117], v[120:121]
	;; [unrolled: 1-line block ×4, first 2 shown]
	v_fma_f64 v[62:63], v[62:63], s[20:21], v[106:107]
	v_fma_f64 v[64:65], v[64:65], s[20:21], -v[108:109]
	v_fma_f64 v[122:123], v[66:67], s[20:21], -v[78:79]
	v_fma_f64 v[124:125], v[68:69], s[20:21], v[80:81]
	v_fma_f64 v[78:79], v[66:67], s[20:21], v[78:79]
	v_fma_f64 v[80:81], v[68:69], s[20:21], -v[80:81]
	v_mul_f64 v[106:107], v[110:111], s[38:39]
	v_mul_f64 v[108:109], v[112:113], s[38:39]
	v_add_f64 v[50:51], v[62:63], v[50:51]
	v_add_f64 v[52:53], v[64:65], v[52:53]
	;; [unrolled: 1-line block ×6, first 2 shown]
	v_mul_f64 v[82:83], v[110:111], s[26:27]
	v_mul_f64 v[84:85], v[112:113], s[26:27]
	v_fma_f64 v[62:63], v[66:67], s[10:11], -v[106:107]
	v_fma_f64 v[64:65], v[68:69], s[10:11], v[108:109]
	v_fma_f64 v[106:107], v[66:67], s[10:11], v[106:107]
	v_fma_f64 v[108:109], v[68:69], s[10:11], -v[108:109]
	s_waitcnt vmcnt(0)
	s_barrier
	v_fma_f64 v[122:123], v[66:67], s[18:19], -v[82:83]
	v_fma_f64 v[124:125], v[68:69], s[18:19], v[84:85]
	v_fma_f64 v[82:83], v[66:67], s[18:19], v[82:83]
	v_fma_f64 v[84:85], v[68:69], s[18:19], -v[84:85]
	v_add_f64 v[62:63], v[62:63], v[90:91]
	v_add_f64 v[64:65], v[64:65], v[92:93]
	v_mul_f64 v[90:91], v[110:111], s[28:29]
	v_mul_f64 v[92:93], v[112:113], s[28:29]
	v_add_f64 v[94:95], v[106:107], v[94:95]
	v_add_f64 v[96:97], v[108:109], v[96:97]
	;; [unrolled: 1-line block ×4, first 2 shown]
	v_add_f64 v[98:99], v[72:73], -v[76:77]
	v_add_f64 v[100:101], v[70:71], -v[74:75]
	v_mul_f64 v[106:107], v[110:111], s[34:35]
	v_mul_f64 v[108:109], v[112:113], s[34:35]
	v_add_f64 v[110:111], v[70:71], v[74:75]
	v_add_f64 v[112:113], v[72:73], v[76:77]
	v_fma_f64 v[126:127], v[66:67], s[24:25], -v[90:91]
	v_fma_f64 v[128:129], v[68:69], s[24:25], v[92:93]
	v_mul_f64 v[70:71], v[98:99], s[28:29]
	v_mul_f64 v[72:73], v[100:101], s[28:29]
	v_fma_f64 v[90:91], v[66:67], s[24:25], v[90:91]
	v_fma_f64 v[92:93], v[68:69], s[24:25], -v[92:93]
	v_fma_f64 v[74:75], v[66:67], s[8:9], -v[106:107]
	v_fma_f64 v[76:77], v[68:69], s[8:9], v[108:109]
	v_fma_f64 v[66:67], v[66:67], s[8:9], v[106:107]
	v_fma_f64 v[68:69], v[68:69], s[8:9], -v[108:109]
	v_fma_f64 v[106:107], v[110:111], s[24:25], -v[70:71]
	v_fma_f64 v[108:109], v[112:113], s[24:25], v[72:73]
	v_add_f64 v[90:91], v[90:91], v[114:115]
	v_add_f64 v[92:93], v[92:93], v[116:117]
	v_add_f64 v[114:115], v[74:75], v[118:119]
	v_add_f64 v[116:117], v[76:77], v[120:121]
	v_mul_f64 v[74:75], v[98:99], s[30:31]
	v_mul_f64 v[76:77], v[100:101], s[30:31]
	v_add_f64 v[118:119], v[66:67], v[50:51]
	v_add_f64 v[120:121], v[68:69], v[52:53]
	;; [unrolled: 1-line block ×4, first 2 shown]
	v_fma_f64 v[58:59], v[110:111], s[24:25], v[70:71]
	v_fma_f64 v[60:61], v[112:113], s[24:25], -v[72:73]
	v_mul_f64 v[70:71], v[98:99], s[22:23]
	v_mul_f64 v[72:73], v[100:101], s[22:23]
	v_fma_f64 v[66:67], v[110:111], s[18:19], -v[74:75]
	v_fma_f64 v[68:69], v[112:113], s[18:19], v[76:77]
	v_fma_f64 v[74:75], v[110:111], s[18:19], v[74:75]
	v_fma_f64 v[76:77], v[112:113], s[18:19], -v[76:77]
	v_add_f64 v[102:103], v[122:123], v[102:103]
	v_add_f64 v[104:105], v[124:125], v[104:105]
	;; [unrolled: 1-line block ×4, first 2 shown]
	v_fma_f64 v[78:79], v[110:111], s[20:21], -v[70:71]
	v_fma_f64 v[80:81], v[112:113], s[20:21], v[72:73]
	v_add_f64 v[62:63], v[66:67], v[62:63]
	v_add_f64 v[64:65], v[68:69], v[64:65]
	;; [unrolled: 1-line block ×4, first 2 shown]
	v_fma_f64 v[74:75], v[110:111], s[20:21], v[70:71]
	v_fma_f64 v[76:77], v[112:113], s[20:21], -v[72:73]
	v_mul_f64 v[94:95], v[98:99], s[34:35]
	v_mul_f64 v[96:97], v[100:101], s[34:35]
	v_add_f64 v[70:71], v[78:79], v[102:103]
	v_add_f64 v[72:73], v[80:81], v[104:105]
	v_mul_f64 v[78:79], v[98:99], s[16:17]
	v_mul_f64 v[80:81], v[100:101], s[16:17]
	v_add_f64 v[86:87], v[126:127], v[86:87]
	v_add_f64 v[88:89], v[128:129], v[88:89]
	;; [unrolled: 1-line block ×4, first 2 shown]
	v_fma_f64 v[82:83], v[110:111], s[8:9], -v[94:95]
	v_fma_f64 v[84:85], v[112:113], s[8:9], v[96:97]
	v_fma_f64 v[98:99], v[110:111], s[10:11], -v[78:79]
	v_fma_f64 v[100:101], v[112:113], s[10:11], v[80:81]
	v_fma_f64 v[94:95], v[110:111], s[8:9], v[94:95]
	v_fma_f64 v[96:97], v[112:113], s[8:9], -v[96:97]
	v_fma_f64 v[102:103], v[110:111], s[10:11], v[78:79]
	v_fma_f64 v[104:105], v[112:113], s[10:11], -v[80:81]
	v_add_f64 v[78:79], v[82:83], v[86:87]
	v_add_f64 v[80:81], v[84:85], v[88:89]
	;; [unrolled: 1-line block ×8, first 2 shown]
	ds_write_b128 v193, v[54:57]
	ds_write_b128 v193, v[50:53] offset:208
	ds_write_b128 v193, v[62:65] offset:416
	;; [unrolled: 1-line block ×10, first 2 shown]
	v_mad_u64_u32 v[88:89], s[2:3], v204, s33, v[48:49]
	s_waitcnt lgkmcnt(0)
	s_barrier
	global_load_dwordx4 v[72:75], v[88:89], off offset:2080
	global_load_dwordx4 v[68:71], v[88:89], off offset:2096
	;; [unrolled: 1-line block ×10, first 2 shown]
	ds_read_b128 v[88:91], v203 offset:2288
	ds_read_b128 v[92:95], v203 offset:4576
	;; [unrolled: 1-line block ×3, first 2 shown]
	s_waitcnt vmcnt(9) lgkmcnt(2)
	v_mul_f64 v[100:101], v[90:91], v[74:75]
	v_mul_f64 v[102:103], v[88:89], v[74:75]
	s_waitcnt vmcnt(8) lgkmcnt(1)
	v_mul_f64 v[104:105], v[94:95], v[70:71]
	v_mul_f64 v[106:107], v[92:93], v[70:71]
	v_fma_f64 v[112:113], v[88:89], v[72:73], -v[100:101]
	v_fma_f64 v[114:115], v[90:91], v[72:73], v[102:103]
	ds_read_b128 v[100:103], v203
	v_fma_f64 v[116:117], v[92:93], v[68:69], -v[104:105]
	v_fma_f64 v[118:119], v[94:95], v[68:69], v[106:107]
	s_waitcnt vmcnt(7) lgkmcnt(1)
	v_mul_f64 v[104:105], v[98:99], v[54:55]
	v_mul_f64 v[106:107], v[96:97], v[54:55]
	ds_read_b128 v[88:91], v203 offset:9152
	ds_read_b128 v[92:95], v203 offset:11440
	s_waitcnt lgkmcnt(2)
	v_add_f64 v[108:109], v[100:101], v[112:113]
	v_add_f64 v[110:111], v[102:103], v[114:115]
	s_waitcnt vmcnt(6) lgkmcnt(1)
	v_mul_f64 v[120:121], v[90:91], v[50:51]
	v_fma_f64 v[122:123], v[96:97], v[52:53], -v[104:105]
	v_fma_f64 v[124:125], v[98:99], v[52:53], v[106:107]
	v_mul_f64 v[96:97], v[88:89], v[50:51]
	s_waitcnt vmcnt(5) lgkmcnt(0)
	v_mul_f64 v[106:107], v[94:95], v[78:79]
	v_add_f64 v[98:99], v[108:109], v[116:117]
	v_add_f64 v[104:105], v[110:111], v[118:119]
	v_mul_f64 v[108:109], v[92:93], v[78:79]
	v_fma_f64 v[120:121], v[88:89], v[48:49], -v[120:121]
	v_fma_f64 v[126:127], v[90:91], v[48:49], v[96:97]
	v_fma_f64 v[128:129], v[92:93], v[76:77], -v[106:107]
	v_add_f64 v[110:111], v[98:99], v[122:123]
	v_add_f64 v[104:105], v[104:105], v[124:125]
	ds_read_b128 v[88:91], v203 offset:13728
	ds_read_b128 v[96:99], v203 offset:16016
	v_fma_f64 v[130:131], v[94:95], v[76:77], v[108:109]
	s_waitcnt vmcnt(4) lgkmcnt(1)
	v_mul_f64 v[132:133], v[90:91], v[66:67]
	s_waitcnt vmcnt(3) lgkmcnt(0)
	v_mul_f64 v[140:141], v[98:99], v[62:63]
	v_add_f64 v[136:137], v[110:111], v[120:121]
	v_add_f64 v[138:139], v[104:105], v[126:127]
	ds_read_b128 v[92:95], v203 offset:18304
	ds_read_b128 v[104:107], v203 offset:20592
	;; [unrolled: 1-line block ×3, first 2 shown]
	v_mul_f64 v[134:135], v[88:89], v[66:67]
	v_mul_f64 v[142:143], v[96:97], v[62:63]
	v_fma_f64 v[132:133], v[88:89], v[64:65], -v[132:133]
	v_fma_f64 v[96:97], v[96:97], v[60:61], -v[140:141]
	v_add_f64 v[88:89], v[136:137], v[128:129]
	s_waitcnt vmcnt(2) lgkmcnt(2)
	v_mul_f64 v[136:137], v[94:95], v[58:59]
	s_waitcnt vmcnt(1) lgkmcnt(0)
	v_mul_f64 v[140:141], v[108:109], v[82:83]
	v_fma_f64 v[134:135], v[90:91], v[64:65], v[134:135]
	v_add_f64 v[90:91], v[138:139], v[130:131]
	v_mul_f64 v[138:139], v[92:93], v[58:59]
	v_fma_f64 v[98:99], v[98:99], v[60:61], v[142:143]
	v_mul_f64 v[142:143], v[110:111], v[82:83]
	v_add_f64 v[88:89], v[88:89], v[132:133]
	v_fma_f64 v[92:93], v[92:93], v[56:57], -v[136:137]
	s_waitcnt vmcnt(0)
	v_mul_f64 v[136:137], v[106:107], v[86:87]
	v_fma_f64 v[110:111], v[110:111], v[80:81], v[140:141]
	v_add_f64 v[90:91], v[90:91], v[134:135]
	v_fma_f64 v[94:95], v[94:95], v[56:57], v[138:139]
	v_mul_f64 v[138:139], v[104:105], v[86:87]
	v_fma_f64 v[108:109], v[108:109], v[80:81], -v[142:143]
	v_add_f64 v[88:89], v[88:89], v[96:97]
	v_fma_f64 v[104:105], v[104:105], v[84:85], -v[136:137]
	v_add_f64 v[136:137], v[114:115], -v[110:111]
	v_add_f64 v[90:91], v[90:91], v[98:99]
	v_add_f64 v[114:115], v[114:115], v[110:111]
	v_fma_f64 v[106:107], v[106:107], v[84:85], v[138:139]
	v_add_f64 v[138:139], v[112:113], -v[108:109]
	v_add_f64 v[88:89], v[88:89], v[92:93]
	v_add_f64 v[112:113], v[112:113], v[108:109]
	v_add_f64 v[171:172], v[116:117], -v[104:105]
	v_mul_f64 v[140:141], v[136:137], s[26:27]
	v_mul_f64 v[145:146], v[136:137], s[36:37]
	;; [unrolled: 1-line block ×5, first 2 shown]
	v_add_f64 v[90:91], v[90:91], v[94:95]
	v_mul_f64 v[142:143], v[138:139], s[26:27]
	v_add_f64 v[88:89], v[88:89], v[104:105]
	v_mul_f64 v[147:148], v[138:139], s[36:37]
	v_mul_f64 v[155:156], v[138:139], s[16:17]
	;; [unrolled: 1-line block ×4, first 2 shown]
	v_add_f64 v[169:170], v[118:119], -v[106:107]
	v_fma_f64 v[173:174], v[112:113], s[24:25], -v[136:137]
	v_add_f64 v[90:91], v[90:91], v[106:107]
	v_fma_f64 v[149:150], v[112:113], s[18:19], -v[140:141]
	v_add_f64 v[88:89], v[88:89], v[108:109]
	v_fma_f64 v[108:109], v[112:113], s[18:19], v[140:141]
	v_fma_f64 v[140:141], v[112:113], s[8:9], -v[145:146]
	v_fma_f64 v[145:146], v[112:113], s[8:9], v[145:146]
	v_fma_f64 v[157:158], v[112:113], s[10:11], -v[153:154]
	;; [unrolled: 2-line block ×3, first 2 shown]
	v_fma_f64 v[161:162], v[112:113], s[20:21], v[161:162]
	v_fma_f64 v[175:176], v[114:115], s[24:25], v[138:139]
	v_add_f64 v[104:105], v[116:117], v[104:105]
	v_mul_f64 v[116:117], v[169:170], s[36:37]
	v_fma_f64 v[112:113], v[112:113], s[24:25], v[136:137]
	v_add_f64 v[136:137], v[100:101], v[173:174]
	v_mul_f64 v[173:174], v[169:170], s[22:23]
	v_fma_f64 v[151:152], v[114:115], s[18:19], v[142:143]
	v_add_f64 v[90:91], v[90:91], v[110:111]
	v_fma_f64 v[110:111], v[114:115], s[18:19], -v[142:143]
	v_fma_f64 v[142:143], v[114:115], s[8:9], v[147:148]
	v_add_f64 v[149:150], v[100:101], v[149:150]
	v_add_f64 v[108:109], v[100:101], v[108:109]
	;; [unrolled: 1-line block ×3, first 2 shown]
	v_fma_f64 v[147:148], v[114:115], s[8:9], -v[147:148]
	v_fma_f64 v[159:160], v[114:115], s[10:11], v[155:156]
	v_fma_f64 v[155:156], v[114:115], s[10:11], -v[155:156]
	v_add_f64 v[145:146], v[100:101], v[145:146]
	v_add_f64 v[157:158], v[100:101], v[157:158]
	v_fma_f64 v[167:168], v[114:115], s[20:21], v[163:164]
	v_add_f64 v[153:154], v[100:101], v[153:154]
	v_fma_f64 v[163:164], v[114:115], s[20:21], -v[163:164]
	v_add_f64 v[165:166], v[100:101], v[165:166]
	v_add_f64 v[161:162], v[100:101], v[161:162]
	;; [unrolled: 1-line block ×3, first 2 shown]
	v_mul_f64 v[118:119], v[171:172], s[36:37]
	v_fma_f64 v[114:115], v[114:115], s[24:25], -v[138:139]
	v_add_f64 v[138:139], v[102:103], v[175:176]
	v_mul_f64 v[175:176], v[171:172], s[22:23]
	v_fma_f64 v[177:178], v[104:105], s[8:9], -v[116:117]
	v_add_f64 v[100:101], v[100:101], v[112:113]
	v_fma_f64 v[112:113], v[104:105], s[8:9], v[116:117]
	v_fma_f64 v[116:117], v[104:105], s[20:21], -v[173:174]
	v_add_f64 v[151:152], v[102:103], v[151:152]
	v_add_f64 v[110:111], v[102:103], v[110:111]
	;; [unrolled: 1-line block ×8, first 2 shown]
	v_fma_f64 v[179:180], v[106:107], s[8:9], v[118:119]
	v_add_f64 v[102:103], v[102:103], v[114:115]
	v_fma_f64 v[114:115], v[106:107], s[8:9], -v[118:119]
	v_fma_f64 v[118:119], v[106:107], s[20:21], v[175:176]
	v_add_f64 v[149:150], v[177:178], v[149:150]
	v_mul_f64 v[177:178], v[169:170], s[40:41]
	v_add_f64 v[108:109], v[112:113], v[108:109]
	v_add_f64 v[112:113], v[116:117], v[140:141]
	v_fma_f64 v[116:117], v[104:105], s[20:21], v[173:174]
	v_mul_f64 v[173:174], v[169:170], s[38:39]
	v_add_f64 v[151:152], v[179:180], v[151:152]
	v_mul_f64 v[179:180], v[171:172], s[40:41]
	v_add_f64 v[110:111], v[114:115], v[110:111]
	v_add_f64 v[114:115], v[118:119], v[142:143]
	v_fma_f64 v[118:119], v[106:107], s[20:21], -v[175:176]
	v_fma_f64 v[140:141], v[104:105], s[24:25], -v[177:178]
	v_mul_f64 v[175:176], v[171:172], s[38:39]
	v_add_f64 v[116:117], v[116:117], v[145:146]
	v_fma_f64 v[145:146], v[104:105], s[10:11], -v[173:174]
	v_fma_f64 v[142:143], v[106:107], s[24:25], v[179:180]
	v_mul_f64 v[169:170], v[169:170], s[30:31]
	v_mul_f64 v[171:172], v[171:172], s[30:31]
	v_add_f64 v[118:119], v[118:119], v[147:148]
	v_add_f64 v[140:141], v[140:141], v[157:158]
	v_fma_f64 v[147:148], v[106:107], s[10:11], v[175:176]
	v_fma_f64 v[157:158], v[104:105], s[10:11], v[173:174]
	v_add_f64 v[145:146], v[145:146], v[165:166]
	v_add_f64 v[165:166], v[124:125], -v[94:95]
	v_add_f64 v[142:143], v[142:143], v[159:160]
	v_fma_f64 v[159:160], v[106:107], s[10:11], -v[175:176]
	v_fma_f64 v[177:178], v[104:105], s[24:25], v[177:178]
	v_add_f64 v[94:95], v[124:125], v[94:95]
	v_add_f64 v[147:148], v[147:148], v[167:168]
	v_add_f64 v[167:168], v[122:123], -v[92:93]
	v_add_f64 v[157:158], v[157:158], v[161:162]
	v_fma_f64 v[161:162], v[104:105], s[18:19], -v[169:170]
	v_add_f64 v[92:93], v[122:123], v[92:93]
	v_mul_f64 v[122:123], v[165:166], s[16:17]
	v_add_f64 v[159:160], v[159:160], v[163:164]
	v_fma_f64 v[163:164], v[106:107], s[18:19], v[171:172]
	v_fma_f64 v[104:105], v[104:105], s[18:19], v[169:170]
	v_mul_f64 v[124:125], v[167:168], s[16:17]
	v_fma_f64 v[179:180], v[106:107], s[24:25], -v[179:180]
	v_add_f64 v[136:137], v[161:162], v[136:137]
	v_mul_f64 v[161:162], v[165:166], s[40:41]
	v_fma_f64 v[169:170], v[92:93], s[10:11], -v[122:123]
	v_fma_f64 v[106:107], v[106:107], s[18:19], -v[171:172]
	v_add_f64 v[138:139], v[163:164], v[138:139]
	v_mul_f64 v[163:164], v[167:168], s[40:41]
	v_fma_f64 v[171:172], v[94:95], s[10:11], v[124:125]
	v_add_f64 v[100:101], v[104:105], v[100:101]
	v_fma_f64 v[104:105], v[92:93], s[10:11], v[122:123]
	v_fma_f64 v[122:123], v[92:93], s[24:25], -v[161:162]
	v_add_f64 v[149:150], v[169:170], v[149:150]
	v_mul_f64 v[169:170], v[165:166], s[34:35]
	v_add_f64 v[102:103], v[106:107], v[102:103]
	v_fma_f64 v[106:107], v[94:95], s[10:11], -v[124:125]
	v_fma_f64 v[124:125], v[94:95], s[24:25], v[163:164]
	v_add_f64 v[151:152], v[171:172], v[151:152]
	v_mul_f64 v[171:172], v[167:168], s[34:35]
	v_add_f64 v[104:105], v[104:105], v[108:109]
	v_add_f64 v[108:109], v[122:123], v[112:113]
	v_fma_f64 v[112:113], v[92:93], s[24:25], v[161:162]
	v_fma_f64 v[122:123], v[92:93], s[8:9], -v[169:170]
	v_mul_f64 v[161:162], v[165:166], s[26:27]
	v_add_f64 v[106:107], v[106:107], v[110:111]
	v_add_f64 v[110:111], v[124:125], v[114:115]
	v_fma_f64 v[114:115], v[94:95], s[24:25], -v[163:164]
	v_fma_f64 v[124:125], v[94:95], s[8:9], v[171:172]
	v_mul_f64 v[163:164], v[167:168], s[26:27]
	v_add_f64 v[112:113], v[112:113], v[116:117]
	v_add_f64 v[116:117], v[122:123], v[140:141]
	v_fma_f64 v[122:123], v[92:93], s[18:19], -v[161:162]
	v_add_f64 v[153:154], v[177:178], v[153:154]
	v_fma_f64 v[169:170], v[92:93], s[8:9], v[169:170]
	v_add_f64 v[114:115], v[114:115], v[118:119]
	v_add_f64 v[118:119], v[124:125], v[142:143]
	v_fma_f64 v[124:125], v[94:95], s[18:19], v[163:164]
	v_fma_f64 v[161:162], v[92:93], s[18:19], v[161:162]
	v_add_f64 v[155:156], v[179:180], v[155:156]
	v_add_f64 v[122:123], v[122:123], v[145:146]
	v_add_f64 v[145:146], v[126:127], -v[98:99]
	v_fma_f64 v[171:172], v[94:95], s[8:9], -v[171:172]
	v_add_f64 v[140:141], v[169:170], v[153:154]
	v_mul_f64 v[153:154], v[165:166], s[22:23]
	v_add_f64 v[124:125], v[124:125], v[147:148]
	v_add_f64 v[147:148], v[120:121], -v[96:97]
	v_add_f64 v[96:97], v[120:121], v[96:97]
	v_fma_f64 v[163:164], v[94:95], s[18:19], -v[163:164]
	v_mul_f64 v[120:121], v[145:146], s[22:23]
	v_add_f64 v[157:158], v[161:162], v[157:158]
	v_add_f64 v[98:99], v[126:127], v[98:99]
	;; [unrolled: 1-line block ×3, first 2 shown]
	v_mul_f64 v[155:156], v[167:168], s[22:23]
	v_mul_f64 v[126:127], v[147:148], s[22:23]
	v_fma_f64 v[165:166], v[92:93], s[20:21], -v[153:154]
	v_add_f64 v[159:160], v[163:164], v[159:160]
	v_fma_f64 v[161:162], v[96:97], s[20:21], -v[120:121]
	v_fma_f64 v[120:121], v[96:97], s[20:21], v[120:121]
	v_fma_f64 v[92:93], v[92:93], s[20:21], v[153:154]
	v_mul_f64 v[153:154], v[145:146], s[38:39]
	v_fma_f64 v[167:168], v[94:95], s[20:21], v[155:156]
	v_fma_f64 v[163:164], v[98:99], s[20:21], v[126:127]
	v_fma_f64 v[126:127], v[98:99], s[20:21], -v[126:127]
	v_fma_f64 v[94:95], v[94:95], s[20:21], -v[155:156]
	v_mul_f64 v[155:156], v[147:148], s[38:39]
	v_add_f64 v[104:105], v[120:121], v[104:105]
	v_mul_f64 v[120:121], v[145:146], s[26:27]
	v_add_f64 v[92:93], v[92:93], v[100:101]
	v_fma_f64 v[100:101], v[96:97], s[10:11], -v[153:154]
	v_add_f64 v[149:150], v[161:162], v[149:150]
	v_add_f64 v[106:107], v[126:127], v[106:107]
	v_mul_f64 v[126:127], v[147:148], s[26:27]
	v_add_f64 v[94:95], v[94:95], v[102:103]
	v_fma_f64 v[102:103], v[98:99], s[10:11], v[155:156]
	v_fma_f64 v[161:162], v[96:97], s[18:19], -v[120:121]
	v_fma_f64 v[120:121], v[96:97], s[18:19], v[120:121]
	v_add_f64 v[151:152], v[163:164], v[151:152]
	v_add_f64 v[108:109], v[100:101], v[108:109]
	v_mul_f64 v[100:101], v[145:146], s[28:29]
	v_fma_f64 v[163:164], v[98:99], s[18:19], v[126:127]
	v_fma_f64 v[126:127], v[98:99], s[18:19], -v[126:127]
	v_add_f64 v[136:137], v[165:166], v[136:137]
	v_add_f64 v[110:111], v[102:103], v[110:111]
	;; [unrolled: 1-line block ×3, first 2 shown]
	v_add_f64 v[140:141], v[130:131], -v[134:135]
	v_mul_f64 v[102:103], v[147:148], s[28:29]
	v_fma_f64 v[153:154], v[96:97], s[10:11], v[153:154]
	v_fma_f64 v[165:166], v[96:97], s[24:25], -v[100:101]
	v_add_f64 v[126:127], v[126:127], v[142:143]
	v_add_f64 v[142:143], v[128:129], -v[132:133]
	v_mul_f64 v[145:146], v[145:146], s[34:35]
	v_fma_f64 v[100:101], v[96:97], s[24:25], v[100:101]
	v_add_f64 v[128:129], v[128:129], v[132:133]
	v_mul_f64 v[132:133], v[140:141], s[28:29]
	v_add_f64 v[138:139], v[167:168], v[138:139]
	v_fma_f64 v[155:156], v[98:99], s[10:11], -v[155:156]
	v_fma_f64 v[167:168], v[98:99], s[24:25], v[102:103]
	v_add_f64 v[112:113], v[153:154], v[112:113]
	v_mul_f64 v[147:148], v[147:148], s[34:35]
	v_fma_f64 v[102:103], v[98:99], s[24:25], -v[102:103]
	v_add_f64 v[130:131], v[130:131], v[134:135]
	v_mul_f64 v[134:135], v[142:143], s[28:29]
	v_fma_f64 v[153:154], v[96:97], s[8:9], -v[145:146]
	v_add_f64 v[157:158], v[100:101], v[157:158]
	v_fma_f64 v[96:97], v[96:97], s[8:9], v[145:146]
	v_fma_f64 v[100:101], v[128:129], s[24:25], -v[132:133]
	v_mul_f64 v[145:146], v[140:141], s[30:31]
	v_add_f64 v[114:115], v[155:156], v[114:115]
	v_fma_f64 v[155:156], v[98:99], s[8:9], v[147:148]
	v_add_f64 v[159:160], v[102:103], v[159:160]
	v_fma_f64 v[98:99], v[98:99], s[8:9], -v[147:148]
	v_fma_f64 v[102:103], v[130:131], s[24:25], v[134:135]
	v_add_f64 v[136:137], v[153:154], v[136:137]
	v_mul_f64 v[147:148], v[142:143], s[30:31]
	v_add_f64 v[153:154], v[96:97], v[92:93]
	v_add_f64 v[92:93], v[100:101], v[149:150]
	v_fma_f64 v[96:97], v[128:129], s[24:25], v[132:133]
	v_fma_f64 v[132:133], v[128:129], s[18:19], -v[145:146]
	v_mul_f64 v[149:150], v[140:141], s[22:23]
	v_add_f64 v[116:117], v[161:162], v[116:117]
	v_add_f64 v[138:139], v[155:156], v[138:139]
	;; [unrolled: 1-line block ×4, first 2 shown]
	v_fma_f64 v[98:99], v[130:131], s[24:25], -v[134:135]
	v_fma_f64 v[134:135], v[130:131], s[18:19], v[147:148]
	v_fma_f64 v[145:146], v[128:129], s[18:19], v[145:146]
	v_fma_f64 v[147:148], v[130:131], s[18:19], -v[147:148]
	v_mul_f64 v[151:152], v[142:143], s[22:23]
	v_add_f64 v[100:101], v[96:97], v[104:105]
	v_add_f64 v[96:97], v[132:133], v[108:109]
	v_fma_f64 v[108:109], v[128:129], s[20:21], -v[149:150]
	v_add_f64 v[118:119], v[163:164], v[118:119]
	v_add_f64 v[102:103], v[98:99], v[106:107]
	;; [unrolled: 1-line block ×5, first 2 shown]
	v_fma_f64 v[110:111], v[130:131], s[20:21], v[151:152]
	v_fma_f64 v[112:113], v[128:129], s[20:21], v[149:150]
	v_fma_f64 v[114:115], v[130:131], s[20:21], -v[151:152]
	v_mul_f64 v[132:133], v[140:141], s[34:35]
	v_mul_f64 v[134:135], v[142:143], s[34:35]
	v_add_f64 v[108:109], v[108:109], v[116:117]
	v_mul_f64 v[116:117], v[140:141], s[16:17]
	v_mul_f64 v[140:141], v[142:143], s[16:17]
	v_add_f64 v[122:123], v[165:166], v[122:123]
	v_add_f64 v[124:125], v[167:168], v[124:125]
	;; [unrolled: 1-line block ×5, first 2 shown]
	v_fma_f64 v[118:119], v[128:129], s[8:9], -v[132:133]
	v_fma_f64 v[120:121], v[130:131], s[8:9], v[134:135]
	v_fma_f64 v[126:127], v[128:129], s[8:9], v[132:133]
	v_fma_f64 v[132:133], v[128:129], s[10:11], -v[116:117]
	v_fma_f64 v[142:143], v[130:131], s[10:11], v[140:141]
	v_fma_f64 v[128:129], v[128:129], s[10:11], v[116:117]
	v_fma_f64 v[140:141], v[130:131], s[10:11], -v[140:141]
	v_fma_f64 v[134:135], v[130:131], s[8:9], -v[134:135]
	v_add_f64 v[116:117], v[118:119], v[122:123]
	v_add_f64 v[118:119], v[120:121], v[124:125]
	;; [unrolled: 1-line block ×8, first 2 shown]
	ds_write_b128 v203, v[88:91]
	ds_write_b128 v203, v[92:95] offset:2288
	ds_write_b128 v203, v[96:99] offset:4576
	ds_write_b128 v203, v[108:111] offset:6864
	ds_write_b128 v203, v[116:119] offset:9152
	ds_write_b128 v203, v[120:123] offset:11440
	ds_write_b128 v203, v[128:131] offset:13728
	ds_write_b128 v203, v[124:127] offset:16016
	ds_write_b128 v203, v[112:115] offset:18304
	ds_write_b128 v203, v[104:107] offset:20592
	ds_write_b128 v203, v[100:103] offset:22880
	s_waitcnt lgkmcnt(0)
	s_barrier
	s_and_saveexec_b64 s[2:3], s[0:1]
	s_cbranch_execz .LBB0_9
; %bb.8:
	v_mov_b32_e32 v132, s15
	v_add_co_u32_e32 v177, vcc, s14, v203
	v_addc_co_u32_e32 v178, vcc, 0, v132, vcc
	v_add_co_u32_e32 v140, vcc, 0x6250, v177
	v_addc_co_u32_e32 v141, vcc, 0, v178, vcc
	;; [unrolled: 2-line block ×3, first 2 shown]
	s_mov_b32 s9, 0x8000
	v_add_co_u32_e32 v153, vcc, s9, v177
	v_addc_co_u32_e32 v154, vcc, 0, v178, vcc
	s_mov_b32 s9, 0x9000
	v_add_co_u32_e32 v161, vcc, s9, v177
	global_load_dwordx4 v[132:135], v[132:133], off offset:592
	s_nop 0
	global_load_dwordx4 v[136:139], v[140:141], off offset:1936
	s_nop 0
	global_load_dwordx4 v[140:143], v[140:141], off offset:3872
	s_movk_i32 s8, 0x7000
	v_addc_co_u32_e32 v162, vcc, 0, v178, vcc
	v_add_co_u32_e32 v165, vcc, s8, v177
	global_load_dwordx4 v[145:148], v[153:154], off offset:144
	global_load_dwordx4 v[149:152], v[153:154], off offset:2080
	s_nop 0
	global_load_dwordx4 v[153:156], v[153:154], off offset:4016
	s_nop 0
	;; [unrolled: 2-line block ×3, first 2 shown]
	global_load_dwordx4 v[161:164], v[161:162], off offset:3792
	v_addc_co_u32_e32 v166, vcc, 0, v178, vcc
	global_load_dwordx4 v[165:168], v[165:166], off offset:2304
	s_mov_b32 s8, 0xa000
	v_add_co_u32_e32 v173, vcc, s8, v177
	s_mov_b32 s9, 0xb000
	v_addc_co_u32_e32 v174, vcc, 0, v178, vcc
	global_load_dwordx4 v[169:172], v[173:174], off offset:1632
	s_nop 0
	global_load_dwordx4 v[173:176], v[173:174], off offset:3568
	v_add_co_u32_e32 v181, vcc, s9, v177
	v_addc_co_u32_e32 v182, vcc, 0, v178, vcc
	global_load_dwordx4 v[177:180], v[181:182], off offset:1408
	s_nop 0
	global_load_dwordx4 v[181:184], v[181:182], off offset:3344
	ds_read_b128 v[185:188], v203
	ds_read_b128 v[189:192], v203 offset:1936
	ds_read_b128 v[194:197], v203 offset:3872
	;; [unrolled: 1-line block ×9, first 2 shown]
	s_waitcnt vmcnt(12) lgkmcnt(9)
	v_mul_f64 v[246:247], v[185:186], v[134:135]
	s_waitcnt vmcnt(11) lgkmcnt(8)
	v_mul_f64 v[230:231], v[191:192], v[138:139]
	v_mul_f64 v[138:139], v[189:190], v[138:139]
	s_waitcnt vmcnt(10) lgkmcnt(7)
	v_mul_f64 v[232:233], v[196:197], v[142:143]
	v_mul_f64 v[142:143], v[194:195], v[142:143]
	s_waitcnt vmcnt(9) lgkmcnt(5)
	v_mul_f64 v[234:235], v[208:209], v[147:148]
	v_mul_f64 v[147:148], v[206:207], v[147:148]
	s_waitcnt vmcnt(8) lgkmcnt(4)
	v_mul_f64 v[236:237], v[212:213], v[151:152]
	v_mul_f64 v[151:152], v[210:211], v[151:152]
	s_waitcnt vmcnt(5) lgkmcnt(1)
	v_mul_f64 v[242:243], v[224:225], v[163:164]
	v_mul_f64 v[244:245], v[222:223], v[163:164]
	v_mul_f64 v[163:164], v[187:188], v[134:135]
	s_waitcnt vmcnt(4)
	v_mul_f64 v[248:249], v[200:201], v[167:168]
	v_mul_f64 v[167:168], v[198:199], v[167:168]
	v_fma_f64 v[134:135], v[189:190], v[136:137], -v[230:231]
	v_fma_f64 v[136:137], v[191:192], v[136:137], v[138:139]
	v_fma_f64 v[138:139], v[194:195], v[140:141], -v[232:233]
	v_fma_f64 v[140:141], v[196:197], v[140:141], v[142:143]
	;; [unrolled: 2-line block ×3, first 2 shown]
	v_mul_f64 v[238:239], v[216:217], v[155:156]
	v_mul_f64 v[155:156], v[214:215], v[155:156]
	v_fma_f64 v[145:146], v[210:211], v[149:150], -v[236:237]
	v_fma_f64 v[147:148], v[212:213], v[149:150], v[151:152]
	v_fma_f64 v[149:150], v[185:186], v[132:133], -v[163:164]
	v_fma_f64 v[151:152], v[187:188], v[132:133], v[246:247]
	;; [unrolled: 2-line block ×3, first 2 shown]
	v_mul_f64 v[240:241], v[220:221], v[159:160]
	v_mul_f64 v[159:160], v[218:219], v[159:160]
	ds_write_b128 v203, v[134:137] offset:1936
	ds_write_b128 v203, v[138:141] offset:3872
	;; [unrolled: 1-line block ×3, first 2 shown]
	ds_write_b128 v203, v[149:152]
	ds_write_b128 v203, v[163:166] offset:5808
	ds_read_b128 v[140:143], v203 offset:19360
	ds_read_b128 v[149:152], v203 offset:21296
	v_fma_f64 v[185:186], v[214:215], v[153:154], -v[238:239]
	v_fma_f64 v[187:188], v[216:217], v[153:154], v[155:156]
	ds_read_b128 v[153:156], v203 offset:23232
	v_fma_f64 v[132:133], v[218:219], v[157:158], -v[240:241]
	v_fma_f64 v[134:135], v[220:221], v[157:158], v[159:160]
	s_waitcnt vmcnt(3) lgkmcnt(8)
	v_mul_f64 v[157:158], v[228:229], v[171:172]
	v_mul_f64 v[159:160], v[226:227], v[171:172]
	v_fma_f64 v[136:137], v[222:223], v[161:162], -v[242:243]
	v_fma_f64 v[138:139], v[224:225], v[161:162], v[244:245]
	s_waitcnt vmcnt(2) lgkmcnt(2)
	v_mul_f64 v[161:162], v[142:143], v[175:176]
	v_mul_f64 v[163:164], v[140:141], v[175:176]
	s_waitcnt vmcnt(1) lgkmcnt(1)
	v_mul_f64 v[165:166], v[151:152], v[179:180]
	v_mul_f64 v[167:168], v[149:150], v[179:180]
	;; [unrolled: 3-line block ×3, first 2 shown]
	v_fma_f64 v[157:158], v[226:227], v[169:170], -v[157:158]
	v_fma_f64 v[159:160], v[228:229], v[169:170], v[159:160]
	v_fma_f64 v[140:141], v[140:141], v[173:174], -v[161:162]
	v_fma_f64 v[142:143], v[142:143], v[173:174], v[163:164]
	;; [unrolled: 2-line block ×4, first 2 shown]
	ds_write_b128 v203, v[145:148] offset:9680
	ds_write_b128 v203, v[185:188] offset:11616
	;; [unrolled: 1-line block ×8, first 2 shown]
.LBB0_9:
	s_or_b64 exec, exec, s[2:3]
	s_waitcnt lgkmcnt(0)
	s_barrier
	s_and_saveexec_b64 s[2:3], s[0:1]
	s_cbranch_execz .LBB0_11
; %bb.10:
	ds_read_b128 v[88:91], v203
	ds_read_b128 v[92:95], v203 offset:1936
	ds_read_b128 v[96:99], v203 offset:3872
	;; [unrolled: 1-line block ×12, first 2 shown]
.LBB0_11:
	s_or_b64 exec, exec, s[2:3]
	s_waitcnt lgkmcnt(0)
	s_barrier
	s_and_saveexec_b64 s[2:3], s[0:1]
	s_cbranch_execz .LBB0_13
; %bb.12:
	v_add_f64 v[191:192], v[92:93], -v[4:5]
	s_mov_b32 s20, 0x4bc48dbf
	s_mov_b32 s21, 0xbfcea1e5
	v_add_f64 v[189:190], v[96:97], -v[0:1]
	v_add_f64 v[159:160], v[94:95], v[6:7]
	s_mov_b32 s18, 0x93053d00
	s_mov_b32 s23, 0x3fddbe06
	;; [unrolled: 1-line block ×3, first 2 shown]
	v_mul_f64 v[140:141], v[191:192], s[20:21]
	s_mov_b32 s19, 0xbfef11f4
	v_add_f64 v[163:164], v[108:109], -v[100:101]
	v_mul_f64 v[142:143], v[189:190], s[22:23]
	v_add_f64 v[155:156], v[98:99], v[2:3]
	v_add_f64 v[171:172], v[94:95], -v[6:7]
	s_mov_b32 s28, 0x24c2f84
	s_mov_b32 s24, 0xe00740e9
	v_fma_f64 v[161:162], v[159:160], s[18:19], v[140:141]
	s_mov_b32 s29, 0xbfe5384d
	s_mov_b32 s25, 0x3fec55a7
	v_add_f64 v[153:154], v[116:117], -v[104:105]
	v_mul_f64 v[175:176], v[163:164], s[28:29]
	v_add_f64 v[157:158], v[110:111], v[102:103]
	v_fma_f64 v[165:166], v[155:156], s[24:25], v[142:143]
	v_add_f64 v[169:170], v[98:99], -v[2:3]
	v_add_f64 v[173:174], v[90:91], v[161:162]
	v_add_f64 v[167:168], v[92:93], v[4:5]
	v_mul_f64 v[181:182], v[171:172], s[20:21]
	s_mov_b32 s40, 0x42a4c3d2
	s_mov_b32 s26, 0xd0032e0c
	s_mov_b32 s41, 0x3fea55e2
	s_mov_b32 s27, 0xbfe7f3cc
	v_mul_f64 v[138:139], v[153:154], s[40:41]
	v_add_f64 v[161:162], v[118:119], v[106:107]
	v_fma_f64 v[177:178], v[157:158], s[26:27], v[175:176]
	v_add_f64 v[179:180], v[165:166], v[173:174]
	v_add_f64 v[173:174], v[110:111], -v[102:103]
	v_add_f64 v[165:166], v[96:97], v[0:1]
	v_mul_f64 v[194:195], v[169:170], s[22:23]
	v_fma_f64 v[185:186], v[167:168], s[18:19], -v[181:182]
	v_fma_f64 v[140:141], v[159:160], s[18:19], -v[140:141]
	s_mov_b32 s30, 0x1ea71119
	s_mov_b32 s31, 0x3fe22d96
	v_add_f64 v[151:152], v[120:121], -v[112:113]
	v_fma_f64 v[187:188], v[161:162], s[30:31], v[138:139]
	v_add_f64 v[177:178], v[177:178], v[179:180]
	v_add_f64 v[183:184], v[118:119], -v[106:107]
	v_add_f64 v[179:180], v[108:109], v[100:101]
	v_mul_f64 v[196:197], v[173:174], s[28:29]
	v_fma_f64 v[198:199], v[165:166], s[24:25], -v[194:195]
	v_add_f64 v[200:201], v[88:89], v[185:186]
	v_fma_f64 v[142:143], v[155:156], s[24:25], -v[142:143]
	v_add_f64 v[140:141], v[90:91], v[140:141]
	s_mov_b32 s16, 0x2ef20147
	s_mov_b32 s17, 0xbfedeba7
	v_add_f64 v[149:150], v[128:129], -v[124:125]
	v_add_f64 v[147:148], v[122:123], v[114:115]
	v_mul_f64 v[132:133], v[151:152], s[16:17]
	v_add_f64 v[206:207], v[187:188], v[177:178]
	v_add_f64 v[185:186], v[122:123], -v[114:115]
	v_add_f64 v[177:178], v[116:117], v[104:105]
	v_mul_f64 v[208:209], v[183:184], s[40:41]
	v_fma_f64 v[210:211], v[179:180], s[26:27], -v[196:197]
	v_add_f64 v[198:199], v[198:199], v[200:201]
	v_fma_f64 v[200:201], v[157:158], s[26:27], -v[175:176]
	v_add_f64 v[140:141], v[142:143], v[140:141]
	v_fma_f64 v[214:215], v[167:168], s[18:19], v[181:182]
	s_mov_b32 s34, 0x66966769
	s_mov_b32 s10, 0xb2365da1
	s_mov_b32 s35, 0x3fefc445
	s_mov_b32 s11, 0xbfd6b1d8
	v_add_f64 v[145:146], v[130:131], v[126:127]
	v_mul_f64 v[134:135], v[149:150], s[34:35]
	v_fma_f64 v[136:137], v[147:148], s[10:11], v[132:133]
	v_add_f64 v[187:188], v[130:131], -v[126:127]
	v_add_f64 v[175:176], v[120:121], v[112:113]
	v_mul_f64 v[142:143], v[185:186], s[16:17]
	v_fma_f64 v[212:213], v[177:178], s[30:31], -v[208:209]
	v_add_f64 v[198:199], v[210:211], v[198:199]
	v_fma_f64 v[138:139], v[161:162], s[30:31], -v[138:139]
	v_add_f64 v[140:141], v[200:201], v[140:141]
	v_fma_f64 v[194:195], v[165:166], s[24:25], v[194:195]
	v_add_f64 v[214:215], v[88:89], v[214:215]
	s_mov_b32 s8, 0xebaa3ed8
	s_mov_b32 s9, 0x3fbedb7d
	v_add_f64 v[181:182], v[128:129], v[124:125]
	v_mul_f64 v[200:201], v[187:188], s[34:35]
	v_fma_f64 v[210:211], v[175:176], s[10:11], -v[142:143]
	v_add_f64 v[198:199], v[212:213], v[198:199]
	v_add_f64 v[138:139], v[138:139], v[140:141]
	v_fma_f64 v[140:141], v[145:146], s[8:9], v[134:135]
	v_add_f64 v[136:137], v[136:137], v[206:207]
	v_fma_f64 v[196:197], v[179:180], s[26:27], v[196:197]
	v_add_f64 v[194:195], v[194:195], v[214:215]
	v_mul_f64 v[212:213], v[191:192], s[28:29]
	v_fma_f64 v[132:133], v[147:148], s[10:11], -v[132:133]
	v_fma_f64 v[206:207], v[181:182], s[8:9], -v[200:201]
	v_add_f64 v[198:199], v[210:211], v[198:199]
	v_fma_f64 v[210:211], v[145:146], s[8:9], -v[134:135]
	v_add_f64 v[134:135], v[140:141], v[136:137]
	v_mul_f64 v[140:141], v[189:190], s[34:35]
	v_add_f64 v[194:195], v[196:197], v[194:195]
	v_fma_f64 v[196:197], v[159:160], s[26:27], v[212:213]
	v_fma_f64 v[212:213], v[159:160], s[26:27], -v[212:213]
	s_mov_b32 s37, 0xbfea55e2
	s_mov_b32 s36, s40
	v_add_f64 v[138:139], v[132:133], v[138:139]
	v_fma_f64 v[208:209], v[177:178], s[30:31], v[208:209]
	v_add_f64 v[132:133], v[206:207], v[198:199]
	v_fma_f64 v[136:137], v[181:182], s[8:9], v[200:201]
	v_mul_f64 v[198:199], v[171:172], s[28:29]
	v_mul_f64 v[200:201], v[163:164], s[36:37]
	v_fma_f64 v[206:207], v[155:156], s[8:9], v[140:141]
	v_add_f64 v[196:197], v[90:91], v[196:197]
	v_fma_f64 v[140:141], v[155:156], s[8:9], -v[140:141]
	v_add_f64 v[212:213], v[90:91], v[212:213]
	s_mov_b32 s45, 0x3fcea1e5
	s_mov_b32 s44, s20
	v_add_f64 v[138:139], v[210:211], v[138:139]
	v_add_f64 v[194:195], v[208:209], v[194:195]
	v_mul_f64 v[208:209], v[169:170], s[34:35]
	v_fma_f64 v[210:211], v[167:168], s[26:27], -v[198:199]
	v_mul_f64 v[214:215], v[153:154], s[44:45]
	v_fma_f64 v[216:217], v[157:158], s[30:31], v[200:201]
	v_add_f64 v[196:197], v[206:207], v[196:197]
	v_fma_f64 v[200:201], v[157:158], s[30:31], -v[200:201]
	v_add_f64 v[140:141], v[140:141], v[212:213]
	v_mul_f64 v[206:207], v[151:152], s[22:23]
	v_mul_f64 v[218:219], v[173:174], s[36:37]
	v_fma_f64 v[220:221], v[165:166], s[8:9], -v[208:209]
	v_add_f64 v[210:211], v[88:89], v[210:211]
	v_fma_f64 v[222:223], v[161:162], s[18:19], v[214:215]
	v_add_f64 v[196:197], v[216:217], v[196:197]
	v_fma_f64 v[214:215], v[161:162], s[18:19], -v[214:215]
	v_add_f64 v[140:141], v[200:201], v[140:141]
	v_fma_f64 v[198:199], v[167:168], s[26:27], v[198:199]
	v_fma_f64 v[142:143], v[175:176], s[10:11], v[142:143]
	v_mul_f64 v[216:217], v[149:150], s[16:17]
	v_mul_f64 v[224:225], v[183:184], s[44:45]
	v_fma_f64 v[226:227], v[179:180], s[30:31], -v[218:219]
	v_add_f64 v[210:211], v[220:221], v[210:211]
	v_fma_f64 v[220:221], v[147:148], s[24:25], v[206:207]
	v_add_f64 v[196:197], v[222:223], v[196:197]
	v_fma_f64 v[206:207], v[147:148], s[24:25], -v[206:207]
	v_add_f64 v[140:141], v[214:215], v[140:141]
	v_fma_f64 v[208:209], v[165:166], s[8:9], v[208:209]
	v_add_f64 v[198:199], v[88:89], v[198:199]
	v_add_f64 v[142:143], v[142:143], v[194:195]
	v_mul_f64 v[194:195], v[185:186], s[22:23]
	v_fma_f64 v[212:213], v[177:178], s[18:19], -v[224:225]
	v_add_f64 v[210:211], v[226:227], v[210:211]
	v_fma_f64 v[222:223], v[145:146], s[10:11], v[216:217]
	v_add_f64 v[196:197], v[220:221], v[196:197]
	v_mul_f64 v[214:215], v[191:192], s[16:17]
	v_add_f64 v[206:207], v[206:207], v[140:141]
	v_fma_f64 v[140:141], v[179:180], s[30:31], v[218:219]
	v_add_f64 v[198:199], v[208:209], v[198:199]
	v_mul_f64 v[208:209], v[171:172], s[16:17]
	s_mov_b32 s43, 0x3fe5384d
	s_mov_b32 s42, s28
	v_fma_f64 v[220:221], v[175:176], s[24:25], -v[194:195]
	v_add_f64 v[210:211], v[212:213], v[210:211]
	v_add_f64 v[136:137], v[136:137], v[142:143]
	;; [unrolled: 1-line block ×3, first 2 shown]
	v_fma_f64 v[212:213], v[145:146], s[10:11], -v[216:217]
	v_mul_f64 v[216:217], v[189:190], s[42:43]
	v_fma_f64 v[218:219], v[159:160], s[10:11], v[214:215]
	v_add_f64 v[140:141], v[140:141], v[198:199]
	v_mul_f64 v[222:223], v[169:170], s[42:43]
	v_fma_f64 v[198:199], v[167:168], s[10:11], -v[208:209]
	v_fma_f64 v[214:215], v[159:160], s[10:11], -v[214:215]
	v_add_f64 v[210:211], v[220:221], v[210:211]
	v_fma_f64 v[220:221], v[177:178], s[18:19], v[224:225]
	v_mul_f64 v[224:225], v[163:164], s[22:23]
	v_fma_f64 v[226:227], v[155:156], s[26:27], v[216:217]
	v_add_f64 v[218:219], v[90:91], v[218:219]
	v_mul_f64 v[228:229], v[173:174], s[22:23]
	v_fma_f64 v[230:231], v[165:166], s[26:27], -v[222:223]
	v_add_f64 v[198:199], v[88:89], v[198:199]
	v_fma_f64 v[216:217], v[155:156], s[26:27], -v[216:217]
	v_add_f64 v[214:215], v[90:91], v[214:215]
	s_mov_b32 s39, 0xbfefc445
	s_mov_b32 s38, s34
	v_mul_f64 v[200:201], v[187:188], s[16:17]
	v_mul_f64 v[232:233], v[153:154], s[38:39]
	v_fma_f64 v[234:235], v[157:158], s[24:25], v[224:225]
	v_add_f64 v[218:219], v[226:227], v[218:219]
	v_add_f64 v[140:141], v[220:221], v[140:141]
	v_mul_f64 v[220:221], v[183:184], s[38:39]
	v_fma_f64 v[226:227], v[179:180], s[24:25], -v[228:229]
	v_add_f64 v[198:199], v[230:231], v[198:199]
	v_fma_f64 v[224:225], v[157:158], s[24:25], -v[224:225]
	v_add_f64 v[214:215], v[216:217], v[214:215]
	v_fma_f64 v[196:197], v[181:182], s[10:11], -v[200:201]
	v_fma_f64 v[194:195], v[175:176], s[24:25], v[194:195]
	v_mul_f64 v[230:231], v[151:152], s[44:45]
	v_fma_f64 v[236:237], v[161:162], s[8:9], v[232:233]
	v_add_f64 v[218:219], v[234:235], v[218:219]
	v_mul_f64 v[234:235], v[185:186], s[44:45]
	v_fma_f64 v[238:239], v[177:178], s[8:9], -v[220:221]
	v_add_f64 v[198:199], v[226:227], v[198:199]
	v_fma_f64 v[232:233], v[161:162], s[8:9], -v[232:233]
	v_add_f64 v[214:215], v[224:225], v[214:215]
	v_mul_f64 v[226:227], v[149:150], s[40:41]
	v_fma_f64 v[240:241], v[147:148], s[18:19], v[230:231]
	v_add_f64 v[218:219], v[236:237], v[218:219]
	v_mul_f64 v[216:217], v[187:188], s[40:41]
	v_fma_f64 v[236:237], v[175:176], s[18:19], -v[234:235]
	v_add_f64 v[198:199], v[238:239], v[198:199]
	v_add_f64 v[194:195], v[194:195], v[140:141]
	v_add_f64 v[140:141], v[196:197], v[210:211]
	v_add_f64 v[196:197], v[212:213], v[206:207]
	v_fma_f64 v[206:207], v[167:168], s[10:11], v[208:209]
	v_fma_f64 v[208:209], v[147:148], s[18:19], -v[230:231]
	v_add_f64 v[210:211], v[232:233], v[214:215]
	v_fma_f64 v[200:201], v[181:182], s[10:11], v[200:201]
	v_fma_f64 v[238:239], v[145:146], s[30:31], v[226:227]
	v_add_f64 v[218:219], v[240:241], v[218:219]
	v_fma_f64 v[224:225], v[181:182], s[30:31], -v[216:217]
	v_add_f64 v[198:199], v[236:237], v[198:199]
	v_fma_f64 v[212:213], v[165:166], s[26:27], v[222:223]
	v_mul_f64 v[214:215], v[191:192], s[38:39]
	v_add_f64 v[206:207], v[88:89], v[206:207]
	v_add_f64 v[208:209], v[208:209], v[210:211]
	v_fma_f64 v[210:211], v[177:178], s[8:9], v[220:221]
	v_mul_f64 v[220:221], v[171:172], s[38:39]
	v_add_f64 v[194:195], v[200:201], v[194:195]
	v_add_f64 v[200:201], v[238:239], v[218:219]
	;; [unrolled: 1-line block ×3, first 2 shown]
	v_fma_f64 v[218:219], v[145:146], s[30:31], -v[226:227]
	v_fma_f64 v[222:223], v[179:180], s[24:25], v[228:229]
	v_mul_f64 v[224:225], v[189:190], s[20:21]
	v_fma_f64 v[226:227], v[159:160], s[8:9], v[214:215]
	v_add_f64 v[206:207], v[212:213], v[206:207]
	v_mul_f64 v[228:229], v[169:170], s[20:21]
	v_fma_f64 v[212:213], v[167:168], s[8:9], -v[220:221]
	s_mov_b32 s41, 0x3fedeba7
	s_mov_b32 s40, s16
	v_mul_f64 v[230:231], v[163:164], s[40:41]
	v_fma_f64 v[232:233], v[155:156], s[18:19], v[224:225]
	v_add_f64 v[226:227], v[90:91], v[226:227]
	v_add_f64 v[206:207], v[222:223], v[206:207]
	v_fma_f64 v[222:223], v[175:176], s[18:19], v[234:235]
	v_mul_f64 v[234:235], v[173:174], s[40:41]
	v_fma_f64 v[236:237], v[165:166], s[18:19], -v[228:229]
	v_add_f64 v[212:213], v[88:89], v[212:213]
	v_mul_f64 v[238:239], v[153:154], s[22:23]
	v_fma_f64 v[240:241], v[157:158], s[10:11], v[230:231]
	v_add_f64 v[226:227], v[232:233], v[226:227]
	v_add_f64 v[206:207], v[210:211], v[206:207]
	v_mul_f64 v[232:233], v[183:184], s[22:23]
	v_fma_f64 v[210:211], v[179:180], s[10:11], -v[234:235]
	v_fma_f64 v[214:215], v[159:160], s[8:9], -v[214:215]
	v_add_f64 v[212:213], v[236:237], v[212:213]
	v_mul_f64 v[236:237], v[151:152], s[36:37]
	v_fma_f64 v[242:243], v[161:162], s[24:25], v[238:239]
	v_add_f64 v[226:227], v[240:241], v[226:227]
	v_mul_f64 v[240:241], v[185:186], s[36:37]
	v_fma_f64 v[244:245], v[177:178], s[24:25], -v[232:233]
	v_fma_f64 v[224:225], v[155:156], s[18:19], -v[224:225]
	v_add_f64 v[214:215], v[90:91], v[214:215]
	v_add_f64 v[210:211], v[210:211], v[212:213]
	v_mul_f64 v[246:247], v[149:150], s[28:29]
	v_fma_f64 v[212:213], v[147:148], s[30:31], v[236:237]
	v_add_f64 v[226:227], v[242:243], v[226:227]
	v_mul_f64 v[242:243], v[187:188], s[28:29]
	v_fma_f64 v[248:249], v[175:176], s[30:31], -v[240:241]
	v_fma_f64 v[230:231], v[157:158], s[10:11], -v[230:231]
	v_add_f64 v[214:215], v[224:225], v[214:215]
	v_add_f64 v[210:211], v[244:245], v[210:211]
	v_fma_f64 v[216:217], v[181:182], s[30:31], v[216:217]
	v_add_f64 v[206:207], v[222:223], v[206:207]
	v_fma_f64 v[222:223], v[145:146], s[26:27], v[246:247]
	v_add_f64 v[212:213], v[212:213], v[226:227]
	v_fma_f64 v[224:225], v[181:182], s[26:27], -v[242:243]
	v_fma_f64 v[226:227], v[161:162], s[24:25], -v[238:239]
	v_add_f64 v[214:215], v[230:231], v[214:215]
	v_add_f64 v[210:211], v[248:249], v[210:211]
	;; [unrolled: 1-line block ×4, first 2 shown]
	v_fma_f64 v[216:217], v[167:168], s[8:9], v[220:221]
	v_mul_f64 v[220:221], v[191:192], s[36:37]
	v_add_f64 v[212:213], v[222:223], v[212:213]
	v_fma_f64 v[218:219], v[147:148], s[30:31], -v[236:237]
	v_add_f64 v[214:215], v[226:227], v[214:215]
	v_add_f64 v[210:211], v[224:225], v[210:211]
	v_fma_f64 v[222:223], v[165:166], s[18:19], v[228:229]
	v_mul_f64 v[224:225], v[171:172], s[36:37]
	v_add_f64 v[216:217], v[88:89], v[216:217]
	v_mul_f64 v[228:229], v[189:190], s[16:17]
	v_fma_f64 v[230:231], v[159:160], s[30:31], v[220:221]
	v_add_f64 v[94:95], v[90:91], v[94:95]
	v_add_f64 v[214:215], v[218:219], v[214:215]
	v_fma_f64 v[218:219], v[179:180], s[10:11], v[234:235]
	v_mul_f64 v[234:235], v[169:170], s[16:17]
	v_fma_f64 v[236:237], v[167:168], s[30:31], -v[224:225]
	v_add_f64 v[216:217], v[222:223], v[216:217]
	v_mul_f64 v[222:223], v[163:164], s[20:21]
	v_fma_f64 v[238:239], v[155:156], s[10:11], v[228:229]
	v_add_f64 v[230:231], v[90:91], v[230:231]
	v_add_f64 v[92:93], v[88:89], v[92:93]
	v_fma_f64 v[226:227], v[145:146], s[26:27], -v[246:247]
	v_mul_f64 v[244:245], v[173:174], s[20:21]
	v_fma_f64 v[246:247], v[165:166], s[10:11], -v[234:235]
	v_add_f64 v[236:237], v[88:89], v[236:237]
	v_add_f64 v[216:217], v[218:219], v[216:217]
	v_mul_f64 v[218:219], v[153:154], s[42:43]
	v_fma_f64 v[248:249], v[157:158], s[18:19], v[222:223]
	v_add_f64 v[230:231], v[238:239], v[230:231]
	v_add_f64 v[94:95], v[94:95], v[98:99]
	;; [unrolled: 1-line block ×3, first 2 shown]
	v_mov_b32_e32 v11, v7
	v_mov_b32_e32 v10, v6
	;; [unrolled: 1-line block ×13, first 2 shown]
	v_fma_f64 v[250:251], v[179:180], s[18:19], -v[244:245]
	v_add_f64 v[236:237], v[246:247], v[236:237]
	v_fma_f64 v[246:247], v[161:162], s[26:27], v[218:219]
	v_add_f64 v[230:231], v[248:249], v[230:231]
	v_add_f64 v[94:95], v[94:95], v[110:111]
	;; [unrolled: 1-line block ×3, first 2 shown]
	v_fma_f64 v[220:221], v[159:160], s[30:31], -v[220:221]
	v_fma_f64 v[228:229], v[155:156], s[10:11], -v[228:229]
	v_fma_f64 v[224:225], v[167:168], s[30:31], v[224:225]
	v_add_f64 v[236:237], v[250:251], v[236:237]
	v_mul_f64 v[250:251], v[149:150], s[22:23]
	v_add_f64 v[230:231], v[246:247], v[230:231]
	v_mul_f64 v[246:247], v[187:188], s[22:23]
	s_mov_b32 s23, 0xbfddbe06
	v_add_f64 v[94:95], v[94:95], v[118:119]
	v_add_f64 v[116:117], v[92:93], v[116:117]
	;; [unrolled: 1-line block ×3, first 2 shown]
	v_mul_f64 v[191:192], v[191:192], s[22:23]
	v_fma_f64 v[222:223], v[157:158], s[18:19], -v[222:223]
	v_add_f64 v[224:225], v[88:89], v[224:225]
	v_mul_f64 v[189:190], v[189:190], s[36:37]
	v_fma_f64 v[238:239], v[175:176], s[30:31], v[240:241]
	v_add_f64 v[94:95], v[94:95], v[122:123]
	v_add_f64 v[116:117], v[116:117], v[120:121]
	;; [unrolled: 1-line block ×3, first 2 shown]
	v_fma_f64 v[228:229], v[165:166], s[10:11], v[234:235]
	v_fma_f64 v[234:235], v[159:160], s[24:25], v[191:192]
	v_mul_f64 v[120:121], v[171:172], s[22:23]
	v_mul_f64 v[240:241], v[183:184], s[42:43]
	v_fma_f64 v[218:219], v[161:162], s[26:27], -v[218:219]
	v_add_f64 v[94:95], v[94:95], v[130:131]
	v_add_f64 v[116:117], v[116:117], v[128:129]
	;; [unrolled: 1-line block ×3, first 2 shown]
	v_fma_f64 v[222:223], v[179:180], s[18:19], v[244:245]
	v_add_f64 v[224:225], v[228:229], v[224:225]
	v_mul_f64 v[163:164], v[163:164], s[38:39]
	v_fma_f64 v[228:229], v[155:156], s[30:31], v[189:190]
	v_add_f64 v[234:235], v[90:91], v[234:235]
	v_fma_f64 v[159:160], v[159:160], s[24:25], -v[191:192]
	v_mul_f64 v[169:170], v[169:170], s[36:37]
	v_fma_f64 v[128:129], v[167:168], s[24:25], v[120:121]
	v_fma_f64 v[120:121], v[167:168], s[24:25], -v[120:121]
	v_add_f64 v[94:95], v[94:95], v[126:127]
	v_add_f64 v[116:117], v[116:117], v[124:125]
	v_fma_f64 v[232:233], v[177:178], s[24:25], v[232:233]
	v_mul_f64 v[248:249], v[185:186], s[34:35]
	v_add_f64 v[96:97], v[218:219], v[220:221]
	v_fma_f64 v[98:99], v[177:178], s[26:27], v[240:241]
	v_add_f64 v[218:219], v[222:223], v[224:225]
	v_mul_f64 v[153:154], v[153:154], s[16:17]
	v_fma_f64 v[220:221], v[157:158], s[8:9], v[163:164]
	v_add_f64 v[222:223], v[228:229], v[234:235]
	v_mul_f64 v[130:131], v[173:174], s[38:39]
	v_fma_f64 v[155:156], v[155:156], s[30:31], -v[189:190]
	v_add_f64 v[90:91], v[90:91], v[159:160]
	v_fma_f64 v[159:160], v[165:166], s[30:31], v[169:170]
	v_add_f64 v[124:125], v[88:89], v[128:129]
	v_fma_f64 v[126:127], v[165:166], s[30:31], -v[169:170]
	v_add_f64 v[88:89], v[88:89], v[120:121]
	v_add_f64 v[94:95], v[94:95], v[114:115]
	;; [unrolled: 1-line block ×4, first 2 shown]
	v_mul_f64 v[232:233], v[151:152], s[34:35]
	v_fma_f64 v[108:109], v[175:176], s[8:9], v[248:249]
	v_add_f64 v[98:99], v[98:99], v[218:219]
	v_mul_f64 v[110:111], v[151:152], s[28:29]
	v_fma_f64 v[151:152], v[161:162], s[10:11], v[153:154]
	v_add_f64 v[218:219], v[220:221], v[222:223]
	v_mul_f64 v[171:172], v[183:184], s[16:17]
	v_fma_f64 v[120:121], v[157:158], s[8:9], -v[163:164]
	v_add_f64 v[90:91], v[155:156], v[90:91]
	v_fma_f64 v[128:129], v[179:180], s[8:9], v[130:131]
	v_add_f64 v[114:115], v[159:160], v[124:125]
	v_fma_f64 v[252:253], v[177:178], s[26:27], -v[240:241]
	v_fma_f64 v[116:117], v[179:180], s[8:9], -v[130:131]
	v_add_f64 v[88:89], v[126:127], v[88:89]
	v_add_f64 v[94:95], v[94:95], v[106:107]
	;; [unrolled: 1-line block ×4, first 2 shown]
	v_mul_f64 v[108:109], v[149:150], s[20:21]
	v_add_f64 v[149:150], v[151:152], v[218:219]
	v_mul_f64 v[151:152], v[185:186], s[28:29]
	v_fma_f64 v[124:125], v[161:162], s[10:11], -v[153:154]
	v_add_f64 v[90:91], v[120:121], v[90:91]
	v_fma_f64 v[120:121], v[177:178], s[10:11], v[171:172]
	v_add_f64 v[106:107], v[128:129], v[114:115]
	v_fma_f64 v[254:255], v[147:148], s[8:9], v[232:233]
	v_mov_b32_e32 v202, v204
	v_mov_b32_e32 v144, v205
	v_fma_f64 v[204:205], v[175:176], s[8:9], -v[248:249]
	v_add_f64 v[236:237], v[252:253], v[236:237]
	v_fma_f64 v[232:233], v[147:148], s[8:9], -v[232:233]
	v_fma_f64 v[112:113], v[177:178], s[10:11], -v[171:172]
	v_add_f64 v[88:89], v[116:117], v[88:89]
	v_add_f64 v[94:95], v[94:95], v[102:103]
	v_add_f64 v[100:101], v[104:105], v[100:101]
	v_fma_f64 v[118:119], v[147:148], s[26:27], v[110:111]
	v_mul_f64 v[122:123], v[187:188], s[20:21]
	v_fma_f64 v[110:111], v[147:148], s[26:27], -v[110:111]
	v_add_f64 v[90:91], v[124:125], v[90:91]
	v_fma_f64 v[114:115], v[175:176], s[26:27], v[151:152]
	v_add_f64 v[102:103], v[120:121], v[106:107]
	v_add_f64 v[204:205], v[204:205], v[236:237]
	v_fma_f64 v[236:237], v[145:146], s[24:25], -v[250:251]
	v_add_f64 v[96:97], v[232:233], v[96:97]
	v_fma_f64 v[242:243], v[181:182], s[26:27], v[242:243]
	v_add_f64 v[238:239], v[238:239], v[216:217]
	v_fma_f64 v[104:105], v[175:176], s[26:27], -v[151:152]
	v_add_f64 v[88:89], v[112:113], v[88:89]
	v_add_f64 v[216:217], v[226:227], v[214:215]
	v_fma_f64 v[226:227], v[145:146], s[24:25], v[250:251]
	v_mov_b32_e32 v250, v0
	v_add_f64 v[94:95], v[94:95], v[3:4]
	v_add_f64 v[0:1], v[100:101], v[1:2]
	v_fma_f64 v[106:107], v[145:146], s[18:19], -v[108:109]
	v_add_f64 v[90:91], v[110:111], v[90:91]
	v_fma_f64 v[110:111], v[181:182], s[18:19], v[122:123]
	v_add_f64 v[100:101], v[114:115], v[102:103]
	v_add_f64 v[92:93], v[236:237], v[96:97]
	v_fma_f64 v[96:97], v[181:182], s[24:25], v[246:247]
	v_add_f64 v[214:215], v[242:243], v[238:239]
	v_fma_f64 v[238:239], v[181:182], s[24:25], -v[246:247]
	v_fma_f64 v[112:113], v[181:182], s[18:19], -v[122:123]
	v_add_f64 v[88:89], v[104:105], v[88:89]
	v_add_f64 v[230:231], v[254:255], v[230:231]
	v_fma_f64 v[102:103], v[145:146], s[18:19], v[108:109]
	v_add_f64 v[108:109], v[118:119], v[149:150]
	v_add_f64 v[6:7], v[94:95], v[10:11]
	;; [unrolled: 1-line block ×6, first 2 shown]
	v_mov_b32_e32 v254, v15
	v_mov_b32_e32 v253, v14
	;; [unrolled: 1-line block ×4, first 2 shown]
	v_add_f64 v[94:95], v[238:239], v[204:205]
	v_mov_b32_e32 v204, v202
	v_add_f64 v[98:99], v[112:113], v[88:89]
	v_lshlrev_b32_e32 v88, 4, v144
	v_add_f64 v[96:97], v[226:227], v[230:231]
	v_add_f64 v[100:101], v[102:103], v[108:109]
	ds_write_b128 v88, v[4:7]
	ds_write_b128 v88, v[0:3] offset:16
	ds_write_b128 v88, v[90:93] offset:32
	;; [unrolled: 1-line block ×12, first 2 shown]
.LBB0_13:
	s_or_b64 exec, exec, s[2:3]
	s_waitcnt lgkmcnt(0)
	s_barrier
	ds_read_b128 v[0:3], v203 offset:2288
	ds_read_b128 v[88:91], v203 offset:6864
	;; [unrolled: 1-line block ×3, first 2 shown]
	s_mov_b32 s16, 0xf8bb580b
	s_mov_b32 s2, 0x8eee2c13
	s_waitcnt lgkmcnt(2)
	v_mul_f64 v[92:93], v[46:47], v[2:3]
	v_mul_f64 v[46:47], v[46:47], v[0:1]
	s_waitcnt lgkmcnt(1)
	v_mul_f64 v[98:99], v[22:23], v[90:91]
	v_mul_f64 v[22:23], v[22:23], v[88:89]
	s_mov_b32 s20, 0x43842ef
	s_mov_b32 s28, 0xbb3a28a1
	;; [unrolled: 1-line block ×4, first 2 shown]
	v_fma_f64 v[92:93], v[44:45], v[0:1], v[92:93]
	v_fma_f64 v[96:97], v[44:45], v[2:3], -v[46:47]
	ds_read_b128 v[44:47], v203
	s_waitcnt lgkmcnt(1)
	v_mul_f64 v[94:95], v[38:39], v[6:7]
	v_mul_f64 v[38:39], v[38:39], v[4:5]
	ds_read_b128 v[0:3], v203 offset:9152
	v_fma_f64 v[98:99], v[20:21], v[88:89], v[98:99]
	v_fma_f64 v[104:105], v[20:21], v[90:91], -v[22:23]
	s_mov_b32 s3, 0xbfed1bb4
	s_mov_b32 s21, 0xbfefac9e
	;; [unrolled: 1-line block ×3, first 2 shown]
	v_fma_f64 v[94:95], v[36:37], v[4:5], v[94:95]
	v_fma_f64 v[100:101], v[36:37], v[6:7], -v[38:39]
	ds_read_b128 v[4:7], v203 offset:11440
	s_waitcnt lgkmcnt(2)
	v_add_f64 v[36:37], v[44:45], v[92:93]
	v_add_f64 v[38:39], v[46:47], v[96:97]
	s_waitcnt lgkmcnt(1)
	v_mul_f64 v[102:103], v[18:19], v[2:3]
	v_mul_f64 v[14:15], v[18:19], v[0:1]
	s_waitcnt lgkmcnt(0)
	v_mul_f64 v[106:107], v[42:43], v[6:7]
	v_mul_f64 v[42:43], v[42:43], v[4:5]
	s_mov_b32 s37, 0xbfd207e7
	s_mov_b32 s10, 0x8764f0ba
	v_add_f64 v[88:89], v[36:37], v[94:95]
	v_add_f64 v[90:91], v[38:39], v[100:101]
	ds_read_b128 v[20:23], v203 offset:13728
	ds_read_b128 v[36:39], v203 offset:16016
	v_fma_f64 v[102:103], v[16:17], v[0:1], v[102:103]
	v_fma_f64 v[108:109], v[16:17], v[2:3], -v[14:15]
	v_fma_f64 v[4:5], v[40:41], v[4:5], v[106:107]
	s_waitcnt lgkmcnt(1)
	v_mul_f64 v[114:115], v[26:27], v[22:23]
	v_mul_f64 v[26:27], v[26:27], v[20:21]
	v_add_f64 v[110:111], v[88:89], v[98:99]
	v_add_f64 v[112:113], v[90:91], v[104:105]
	ds_read_b128 v[0:3], v203 offset:18304
	ds_read_b128 v[12:15], v203 offset:20592
	;; [unrolled: 1-line block ×3, first 2 shown]
	buffer_load_dword v8, off, s[52:55], 0  ; 4-byte Folded Reload
	buffer_load_dword v9, off, s[52:55], 0 offset:4 ; 4-byte Folded Reload
	buffer_load_dword v10, off, s[52:55], 0 offset:8 ; 4-byte Folded Reload
	;; [unrolled: 1-line block ×3, first 2 shown]
	v_fma_f64 v[6:7], v[40:41], v[6:7], -v[42:43]
	s_mov_b32 s8, 0xd9c712b6
	v_fma_f64 v[20:21], v[24:25], v[20:21], v[114:115]
	v_fma_f64 v[22:23], v[24:25], v[22:23], -v[26:27]
	v_add_f64 v[40:41], v[110:111], v[102:103]
	v_add_f64 v[42:43], v[112:113], v[108:109]
	s_mov_b32 s24, 0x640f44db
	s_mov_b32 s30, 0x7f775887
	s_mov_b32 s38, 0x9bcd5057
	s_mov_b32 s11, 0x3feaeb8c
	s_mov_b32 s9, 0x3fda9628
	s_mov_b32 s25, 0xbfc2375f
	v_add_f64 v[24:25], v[40:41], v[4:5]
	v_add_f64 v[26:27], v[42:43], v[6:7]
	s_waitcnt lgkmcnt(0)
	v_mul_f64 v[40:41], v[34:35], v[88:89]
	v_mul_f64 v[42:43], v[253:254], v[2:3]
	s_mov_b32 s31, 0xbfe4f49e
	s_mov_b32 s39, 0xbfeeb42a
	;; [unrolled: 1-line block ×12, first 2 shown]
	s_waitcnt vmcnt(0)
	s_barrier
	v_mul_f64 v[106:107], v[10:11], v[38:39]
	v_mul_f64 v[18:19], v[10:11], v[36:37]
	;; [unrolled: 1-line block ×3, first 2 shown]
	v_fma_f64 v[36:37], v[8:9], v[36:37], v[106:107]
	v_fma_f64 v[16:17], v[8:9], v[38:39], -v[18:19]
	v_add_f64 v[18:19], v[24:25], v[20:21]
	v_add_f64 v[24:25], v[26:27], v[22:23]
	v_mul_f64 v[26:27], v[34:35], v[90:91]
	v_fma_f64 v[34:35], v[32:33], v[90:91], -v[40:41]
	v_mul_f64 v[38:39], v[30:31], v[14:15]
	v_mul_f64 v[30:31], v[30:31], v[12:13]
	v_fma_f64 v[40:41], v[251:252], v[0:1], v[42:43]
	v_fma_f64 v[8:9], v[251:252], v[2:3], -v[10:11]
	v_add_f64 v[0:1], v[18:19], v[36:37]
	v_add_f64 v[2:3], v[24:25], v[16:17]
	v_fma_f64 v[10:11], v[32:33], v[88:89], v[26:27]
	v_add_f64 v[18:19], v[96:97], -v[34:35]
	v_fma_f64 v[12:13], v[28:29], v[12:13], v[38:39]
	v_fma_f64 v[14:15], v[28:29], v[14:15], -v[30:31]
	v_add_f64 v[24:25], v[96:97], v[34:35]
	v_add_f64 v[0:1], v[0:1], v[40:41]
	v_add_f64 v[2:3], v[2:3], v[8:9]
	v_add_f64 v[26:27], v[92:93], v[10:11]
	v_mul_f64 v[28:29], v[18:19], s[16:17]
	v_add_f64 v[30:31], v[92:93], -v[10:11]
	v_mul_f64 v[42:43], v[18:19], s[2:3]
	v_mul_f64 v[92:93], v[18:19], s[20:21]
	;; [unrolled: 1-line block ×4, first 2 shown]
	v_add_f64 v[120:121], v[100:101], -v[14:15]
	v_mul_f64 v[32:33], v[24:25], s[10:11]
	v_add_f64 v[0:1], v[0:1], v[12:13]
	v_add_f64 v[2:3], v[2:3], v[14:15]
	v_fma_f64 v[38:39], v[26:27], s[10:11], v[28:29]
	v_mul_f64 v[88:89], v[24:25], s[8:9]
	v_mul_f64 v[106:107], v[24:25], s[24:25]
	;; [unrolled: 1-line block ×4, first 2 shown]
	v_add_f64 v[14:15], v[100:101], v[14:15]
	v_fma_f64 v[100:101], v[26:27], s[38:39], v[18:19]
	v_add_f64 v[124:125], v[94:95], v[12:13]
	v_add_f64 v[12:13], v[94:95], -v[12:13]
	v_mul_f64 v[94:95], v[120:121], s[2:3]
	v_fma_f64 v[90:91], v[30:31], s[22:23], v[32:33]
	v_add_f64 v[0:1], v[0:1], v[10:11]
	v_add_f64 v[2:3], v[2:3], v[34:35]
	v_fma_f64 v[10:11], v[26:27], s[10:11], -v[28:29]
	v_add_f64 v[28:29], v[44:45], v[38:39]
	v_fma_f64 v[32:33], v[30:31], s[16:17], v[32:33]
	v_fma_f64 v[34:35], v[26:27], s[8:9], v[42:43]
	v_fma_f64 v[38:39], v[30:31], s[18:19], v[88:89]
	v_fma_f64 v[42:43], v[26:27], s[8:9], -v[42:43]
	v_fma_f64 v[88:89], v[30:31], s[2:3], v[88:89]
	v_fma_f64 v[96:97], v[26:27], s[24:25], v[92:93]
	v_fma_f64 v[114:115], v[30:31], s[26:27], v[106:107]
	v_fma_f64 v[92:93], v[26:27], s[24:25], -v[92:93]
	;; [unrolled: 4-line block ×3, first 2 shown]
	v_fma_f64 v[112:113], v[30:31], s[28:29], v[112:113]
	v_fma_f64 v[122:123], v[30:31], s[40:41], v[24:25]
	v_mul_f64 v[126:127], v[14:15], s[8:9]
	v_fma_f64 v[18:19], v[26:27], s[38:39], -v[18:19]
	v_fma_f64 v[24:25], v[30:31], s[36:37], v[24:25]
	v_add_f64 v[26:27], v[44:45], v[100:101]
	v_mul_f64 v[100:101], v[120:121], s[28:29]
	v_fma_f64 v[128:129], v[124:125], s[8:9], v[94:95]
	v_add_f64 v[90:91], v[46:47], v[90:91]
	v_add_f64 v[10:11], v[44:45], v[10:11]
	;; [unrolled: 1-line block ×16, first 2 shown]
	v_mul_f64 v[122:123], v[14:15], s[30:31]
	v_fma_f64 v[130:131], v[12:13], s[18:19], v[126:127]
	v_add_f64 v[18:19], v[44:45], v[18:19]
	v_add_f64 v[24:25], v[46:47], v[24:25]
	v_fma_f64 v[44:45], v[124:125], s[8:9], -v[94:95]
	v_fma_f64 v[46:47], v[12:13], s[2:3], v[126:127]
	v_fma_f64 v[94:95], v[124:125], s[30:31], v[100:101]
	v_add_f64 v[28:29], v[128:129], v[28:29]
	v_mul_f64 v[128:129], v[120:121], s[40:41]
	v_fma_f64 v[126:127], v[12:13], s[34:35], v[122:123]
	v_add_f64 v[90:91], v[130:131], v[90:91]
	v_mul_f64 v[130:131], v[14:15], s[38:39]
	v_add_f64 v[10:11], v[44:45], v[10:11]
	v_add_f64 v[32:33], v[46:47], v[32:33]
	;; [unrolled: 1-line block ×3, first 2 shown]
	v_fma_f64 v[44:45], v[124:125], s[30:31], -v[100:101]
	v_fma_f64 v[46:47], v[12:13], s[28:29], v[122:123]
	v_fma_f64 v[94:95], v[124:125], s[38:39], v[128:129]
	v_mul_f64 v[122:123], v[120:121], s[26:27]
	v_add_f64 v[38:39], v[126:127], v[38:39]
	v_fma_f64 v[100:101], v[12:13], s[36:37], v[130:131]
	v_mul_f64 v[126:127], v[14:15], s[24:25]
	v_fma_f64 v[130:131], v[12:13], s[40:41], v[130:131]
	v_add_f64 v[42:43], v[44:45], v[42:43]
	v_add_f64 v[44:45], v[46:47], v[88:89]
	v_add_f64 v[46:47], v[94:95], v[96:97]
	v_fma_f64 v[94:95], v[124:125], s[24:25], v[122:123]
	v_mul_f64 v[120:121], v[120:121], s[22:23]
	v_add_f64 v[88:89], v[100:101], v[114:115]
	v_fma_f64 v[114:115], v[12:13], s[26:27], v[126:127]
	v_add_f64 v[100:101], v[130:131], v[106:107]
	v_fma_f64 v[106:107], v[124:125], s[24:25], -v[122:123]
	v_mul_f64 v[14:15], v[14:15], s[10:11]
	v_fma_f64 v[96:97], v[12:13], s[20:21], v[126:127]
	v_add_f64 v[94:95], v[94:95], v[116:117]
	v_add_f64 v[116:117], v[104:105], -v[8:9]
	v_add_f64 v[8:9], v[104:105], v[8:9]
	v_fma_f64 v[128:129], v[124:125], s[38:39], -v[128:129]
	v_add_f64 v[104:105], v[106:107], v[110:111]
	v_add_f64 v[106:107], v[114:115], v[112:113]
	v_fma_f64 v[110:111], v[124:125], s[10:11], v[120:121]
	v_fma_f64 v[112:113], v[12:13], s[16:17], v[14:15]
	v_add_f64 v[114:115], v[98:99], v[40:41]
	v_add_f64 v[40:41], v[98:99], -v[40:41]
	v_mul_f64 v[98:99], v[116:117], s[20:21]
	v_add_f64 v[96:97], v[96:97], v[118:119]
	v_mul_f64 v[118:119], v[8:9], s[24:25]
	v_fma_f64 v[12:13], v[12:13], s[22:23], v[14:15]
	v_add_f64 v[14:15], v[110:111], v[26:27]
	v_add_f64 v[26:27], v[112:113], v[30:31]
	v_mul_f64 v[30:31], v[116:117], s[40:41]
	v_fma_f64 v[120:121], v[124:125], s[10:11], -v[120:121]
	v_fma_f64 v[112:113], v[114:115], s[24:25], v[98:99]
	v_mul_f64 v[110:111], v[8:9], s[38:39]
	v_fma_f64 v[122:123], v[40:41], s[26:27], v[118:119]
	v_add_f64 v[12:13], v[12:13], v[24:25]
	v_fma_f64 v[24:25], v[114:115], s[24:25], -v[98:99]
	v_fma_f64 v[98:99], v[40:41], s[20:21], v[118:119]
	v_fma_f64 v[118:119], v[114:115], s[38:39], v[30:31]
	v_add_f64 v[18:19], v[120:121], v[18:19]
	v_add_f64 v[28:29], v[112:113], v[28:29]
	v_mul_f64 v[112:113], v[116:117], s[18:19]
	v_fma_f64 v[120:121], v[40:41], s[36:37], v[110:111]
	v_add_f64 v[90:91], v[122:123], v[90:91]
	v_mul_f64 v[122:123], v[8:9], s[8:9]
	v_add_f64 v[10:11], v[24:25], v[10:11]
	v_add_f64 v[24:25], v[98:99], v[32:33]
	;; [unrolled: 1-line block ×3, first 2 shown]
	v_fma_f64 v[30:31], v[114:115], s[38:39], -v[30:31]
	v_fma_f64 v[98:99], v[114:115], s[8:9], v[112:113]
	v_mul_f64 v[118:119], v[116:117], s[16:17]
	v_add_f64 v[34:35], v[120:121], v[38:39]
	v_fma_f64 v[38:39], v[40:41], s[40:41], v[110:111]
	v_fma_f64 v[110:111], v[40:41], s[2:3], v[122:123]
	v_add_f64 v[92:93], v[128:129], v[92:93]
	v_mul_f64 v[120:121], v[8:9], s[10:11]
	v_add_f64 v[30:31], v[30:31], v[42:43]
	v_add_f64 v[42:43], v[98:99], v[46:47]
	v_fma_f64 v[46:47], v[114:115], s[10:11], v[118:119]
	v_fma_f64 v[112:113], v[114:115], s[8:9], -v[112:113]
	v_fma_f64 v[122:123], v[40:41], s[18:19], v[122:123]
	v_add_f64 v[38:39], v[38:39], v[44:45]
	v_add_f64 v[44:45], v[110:111], v[88:89]
	v_mul_f64 v[8:9], v[8:9], s[30:31]
	v_fma_f64 v[110:111], v[114:115], s[10:11], -v[118:119]
	v_fma_f64 v[88:89], v[40:41], s[22:23], v[120:121]
	v_add_f64 v[46:47], v[46:47], v[94:95]
	v_add_f64 v[94:95], v[108:109], -v[16:17]
	v_add_f64 v[92:93], v[112:113], v[92:93]
	v_add_f64 v[98:99], v[122:123], v[100:101]
	v_mul_f64 v[100:101], v[116:117], s[28:29]
	v_fma_f64 v[112:113], v[40:41], s[16:17], v[120:121]
	v_add_f64 v[16:17], v[108:109], v[16:17]
	v_fma_f64 v[108:109], v[40:41], s[34:35], v[8:9]
	v_add_f64 v[104:105], v[110:111], v[104:105]
	v_add_f64 v[110:111], v[102:103], v[36:37]
	v_add_f64 v[36:37], v[102:103], -v[36:37]
	v_mul_f64 v[102:103], v[94:95], s[28:29]
	v_add_f64 v[88:89], v[88:89], v[96:97]
	v_fma_f64 v[96:97], v[114:115], s[30:31], v[100:101]
	v_add_f64 v[106:107], v[112:113], v[106:107]
	v_mul_f64 v[112:113], v[16:17], s[30:31]
	v_add_f64 v[26:27], v[108:109], v[26:27]
	v_fma_f64 v[8:9], v[40:41], s[28:29], v[8:9]
	v_mul_f64 v[40:41], v[94:95], s[26:27]
	v_fma_f64 v[108:109], v[110:111], s[30:31], v[102:103]
	v_fma_f64 v[102:103], v[110:111], s[30:31], -v[102:103]
	v_add_f64 v[14:15], v[96:97], v[14:15]
	v_fma_f64 v[96:97], v[114:115], s[30:31], -v[100:101]
	v_mul_f64 v[100:101], v[16:17], s[24:25]
	v_fma_f64 v[114:115], v[36:37], s[34:35], v[112:113]
	v_fma_f64 v[112:113], v[36:37], s[28:29], v[112:113]
	v_add_f64 v[8:9], v[8:9], v[12:13]
	v_add_f64 v[28:29], v[108:109], v[28:29]
	;; [unrolled: 1-line block ×3, first 2 shown]
	v_mul_f64 v[102:103], v[94:95], s[16:17]
	v_mul_f64 v[108:109], v[16:17], s[10:11]
	v_add_f64 v[18:19], v[96:97], v[18:19]
	v_fma_f64 v[12:13], v[110:111], s[24:25], v[40:41]
	v_fma_f64 v[96:97], v[36:37], s[20:21], v[100:101]
	v_add_f64 v[90:91], v[114:115], v[90:91]
	v_add_f64 v[24:25], v[112:113], v[24:25]
	v_fma_f64 v[40:41], v[110:111], s[24:25], -v[40:41]
	v_fma_f64 v[100:101], v[36:37], s[26:27], v[100:101]
	v_fma_f64 v[112:113], v[110:111], s[10:11], v[102:103]
	;; [unrolled: 1-line block ×3, first 2 shown]
	v_fma_f64 v[102:103], v[110:111], s[10:11], -v[102:103]
	v_fma_f64 v[108:109], v[36:37], s[16:17], v[108:109]
	v_add_f64 v[12:13], v[12:13], v[32:33]
	v_add_f64 v[32:33], v[96:97], v[34:35]
	v_mul_f64 v[34:35], v[94:95], s[36:37]
	v_mul_f64 v[96:97], v[16:17], s[38:39]
	v_add_f64 v[30:31], v[40:41], v[30:31]
	v_add_f64 v[38:39], v[100:101], v[38:39]
	v_add_f64 v[40:41], v[112:113], v[42:43]
	v_add_f64 v[42:43], v[114:115], v[44:45]
	v_add_f64 v[44:45], v[102:103], v[92:93]
	v_add_f64 v[92:93], v[108:109], v[98:99]
	v_add_f64 v[98:99], v[6:7], -v[22:23]
	v_add_f64 v[100:101], v[6:7], v[22:23]
	v_mul_f64 v[6:7], v[94:95], s[18:19]
	v_mul_f64 v[16:17], v[16:17], s[8:9]
	v_fma_f64 v[116:117], v[110:111], s[38:39], v[34:35]
	v_fma_f64 v[118:119], v[36:37], s[40:41], v[96:97]
	v_fma_f64 v[22:23], v[110:111], s[38:39], -v[34:35]
	v_fma_f64 v[34:35], v[36:37], s[36:37], v[96:97]
	v_add_f64 v[94:95], v[4:5], v[20:21]
	v_add_f64 v[96:97], v[4:5], -v[20:21]
	v_mul_f64 v[20:21], v[98:99], s[36:37]
	v_mul_f64 v[102:103], v[100:101], s[38:39]
	v_fma_f64 v[4:5], v[110:111], s[8:9], v[6:7]
	v_fma_f64 v[108:109], v[36:37], s[2:3], v[16:17]
	v_add_f64 v[104:105], v[22:23], v[104:105]
	v_add_f64 v[34:35], v[34:35], v[106:107]
	v_fma_f64 v[6:7], v[110:111], s[8:9], -v[6:7]
	v_fma_f64 v[16:17], v[36:37], s[18:19], v[16:17]
	v_fma_f64 v[22:23], v[94:95], s[38:39], v[20:21]
	;; [unrolled: 1-line block ×3, first 2 shown]
	v_add_f64 v[106:107], v[4:5], v[14:15]
	v_add_f64 v[108:109], v[108:109], v[26:27]
	v_mul_f64 v[14:15], v[98:99], s[22:23]
	v_mul_f64 v[26:27], v[100:101], s[10:11]
	v_add_f64 v[110:111], v[6:7], v[18:19]
	v_add_f64 v[112:113], v[16:17], v[8:9]
	v_add_f64 v[4:5], v[22:23], v[28:29]
	v_add_f64 v[6:7], v[36:37], v[90:91]
	v_fma_f64 v[8:9], v[94:95], s[38:39], -v[20:21]
	v_fma_f64 v[16:17], v[96:97], s[36:37], v[102:103]
	v_fma_f64 v[18:19], v[94:95], s[10:11], v[14:15]
	;; [unrolled: 1-line block ×3, first 2 shown]
	v_mul_f64 v[22:23], v[98:99], s[28:29]
	v_mul_f64 v[28:29], v[100:101], s[30:31]
	v_fma_f64 v[36:37], v[94:95], s[10:11], -v[14:15]
	v_fma_f64 v[26:27], v[96:97], s[22:23], v[26:27]
	v_add_f64 v[8:9], v[8:9], v[10:11]
	v_add_f64 v[10:11], v[16:17], v[24:25]
	;; [unrolled: 1-line block ×4, first 2 shown]
	v_fma_f64 v[20:21], v[94:95], s[30:31], v[22:23]
	v_fma_f64 v[24:25], v[96:97], s[34:35], v[28:29]
	v_add_f64 v[16:17], v[36:37], v[30:31]
	v_add_f64 v[18:19], v[26:27], v[38:39]
	v_fma_f64 v[26:27], v[94:95], s[30:31], -v[22:23]
	v_fma_f64 v[28:29], v[96:97], s[28:29], v[28:29]
	v_mul_f64 v[30:31], v[98:99], s[18:19]
	v_mul_f64 v[32:33], v[100:101], s[8:9]
	;; [unrolled: 1-line block ×4, first 2 shown]
	v_add_f64 v[46:47], v[116:117], v[46:47]
	v_add_f64 v[88:89], v[118:119], v[88:89]
	;; [unrolled: 1-line block ×6, first 2 shown]
	v_fma_f64 v[28:29], v[94:95], s[8:9], v[30:31]
	v_fma_f64 v[40:41], v[96:97], s[2:3], v[32:33]
	;; [unrolled: 1-line block ×4, first 2 shown]
	v_fma_f64 v[42:43], v[94:95], s[8:9], -v[30:31]
	v_fma_f64 v[44:45], v[96:97], s[18:19], v[32:33]
	v_fma_f64 v[94:95], v[94:95], s[24:25], -v[36:37]
	v_fma_f64 v[96:97], v[96:97], s[20:21], v[38:39]
	v_add_f64 v[28:29], v[28:29], v[46:47]
	v_add_f64 v[30:31], v[40:41], v[88:89]
	;; [unrolled: 1-line block ×8, first 2 shown]
	ds_write_b128 v193, v[0:3]
	ds_write_b128 v193, v[4:7] offset:208
	ds_write_b128 v193, v[12:15] offset:416
	;; [unrolled: 1-line block ×10, first 2 shown]
	s_waitcnt lgkmcnt(0)
	s_barrier
	ds_read_b128 v[0:3], v203 offset:2288
	ds_read_b128 v[4:7], v203 offset:4576
	;; [unrolled: 1-line block ×3, first 2 shown]
	s_waitcnt lgkmcnt(2)
	v_mul_f64 v[12:13], v[74:75], v[2:3]
	v_mul_f64 v[14:15], v[74:75], v[0:1]
	s_waitcnt lgkmcnt(1)
	v_mul_f64 v[16:17], v[70:71], v[6:7]
	v_mul_f64 v[18:19], v[70:71], v[4:5]
	v_fma_f64 v[24:25], v[72:73], v[0:1], v[12:13]
	v_fma_f64 v[26:27], v[72:73], v[2:3], -v[14:15]
	ds_read_b128 v[0:3], v203
	v_fma_f64 v[28:29], v[68:69], v[4:5], v[16:17]
	v_fma_f64 v[30:31], v[68:69], v[6:7], -v[18:19]
	s_waitcnt lgkmcnt(1)
	v_mul_f64 v[16:17], v[54:55], v[10:11]
	v_mul_f64 v[18:19], v[54:55], v[8:9]
	ds_read_b128 v[4:7], v203 offset:9152
	ds_read_b128 v[12:15], v203 offset:11440
	s_waitcnt lgkmcnt(2)
	v_add_f64 v[20:21], v[0:1], v[24:25]
	v_add_f64 v[22:23], v[2:3], v[26:27]
	s_waitcnt lgkmcnt(1)
	v_mul_f64 v[32:33], v[50:51], v[6:7]
	v_fma_f64 v[34:35], v[52:53], v[8:9], v[16:17]
	v_fma_f64 v[36:37], v[52:53], v[10:11], -v[18:19]
	v_mul_f64 v[8:9], v[50:51], v[4:5]
	s_waitcnt lgkmcnt(0)
	v_mul_f64 v[18:19], v[78:79], v[14:15]
	v_add_f64 v[10:11], v[20:21], v[28:29]
	v_add_f64 v[16:17], v[22:23], v[30:31]
	v_mul_f64 v[20:21], v[78:79], v[12:13]
	v_fma_f64 v[32:33], v[48:49], v[4:5], v[32:33]
	v_fma_f64 v[38:39], v[48:49], v[6:7], -v[8:9]
	v_fma_f64 v[40:41], v[76:77], v[12:13], v[18:19]
	v_add_f64 v[22:23], v[10:11], v[34:35]
	v_add_f64 v[16:17], v[16:17], v[36:37]
	ds_read_b128 v[4:7], v203 offset:13728
	ds_read_b128 v[8:11], v203 offset:16016
	v_fma_f64 v[42:43], v[76:77], v[14:15], -v[20:21]
	s_waitcnt lgkmcnt(1)
	v_mul_f64 v[44:45], v[66:67], v[6:7]
	v_mul_f64 v[46:47], v[66:67], v[4:5]
	v_add_f64 v[48:49], v[22:23], v[32:33]
	v_add_f64 v[50:51], v[16:17], v[38:39]
	ds_read_b128 v[12:15], v203 offset:18304
	ds_read_b128 v[16:19], v203 offset:20592
	;; [unrolled: 1-line block ×3, first 2 shown]
	s_waitcnt lgkmcnt(3)
	v_mul_f64 v[52:53], v[62:63], v[10:11]
	v_mul_f64 v[54:55], v[62:63], v[8:9]
	v_fma_f64 v[44:45], v[64:65], v[4:5], v[44:45]
	v_fma_f64 v[46:47], v[64:65], v[6:7], -v[46:47]
	v_add_f64 v[4:5], v[48:49], v[40:41]
	v_add_f64 v[6:7], v[50:51], v[42:43]
	s_waitcnt lgkmcnt(2)
	v_mul_f64 v[48:49], v[58:59], v[14:15]
	s_waitcnt lgkmcnt(0)
	v_mul_f64 v[50:51], v[82:83], v[20:21]
	v_fma_f64 v[8:9], v[60:61], v[8:9], v[52:53]
	v_fma_f64 v[10:11], v[60:61], v[10:11], -v[54:55]
	v_mul_f64 v[52:53], v[58:59], v[12:13]
	v_mul_f64 v[54:55], v[82:83], v[22:23]
	v_add_f64 v[4:5], v[4:5], v[44:45]
	v_add_f64 v[6:7], v[6:7], v[46:47]
	v_fma_f64 v[12:13], v[56:57], v[12:13], v[48:49]
	v_mul_f64 v[48:49], v[86:87], v[18:19]
	v_fma_f64 v[22:23], v[80:81], v[22:23], -v[50:51]
	v_mul_f64 v[58:59], v[86:87], v[16:17]
	v_fma_f64 v[14:15], v[56:57], v[14:15], -v[52:53]
	v_fma_f64 v[20:21], v[80:81], v[20:21], v[54:55]
	v_add_f64 v[4:5], v[4:5], v[8:9]
	v_add_f64 v[6:7], v[6:7], v[10:11]
	v_fma_f64 v[16:17], v[84:85], v[16:17], v[48:49]
	v_add_f64 v[48:49], v[26:27], -v[22:23]
	v_add_f64 v[26:27], v[26:27], v[22:23]
	v_fma_f64 v[18:19], v[84:85], v[18:19], -v[58:59]
	v_add_f64 v[50:51], v[24:25], v[20:21]
	v_add_f64 v[24:25], v[24:25], -v[20:21]
	v_add_f64 v[6:7], v[6:7], v[14:15]
	v_add_f64 v[4:5], v[4:5], v[12:13]
	;; [unrolled: 1-line block ×3, first 2 shown]
	v_mul_f64 v[72:73], v[48:49], s[28:29]
	v_mul_f64 v[74:75], v[26:27], s[30:31]
	;; [unrolled: 1-line block ×5, first 2 shown]
	v_add_f64 v[6:7], v[6:7], v[18:19]
	v_mul_f64 v[58:59], v[26:27], s[8:9]
	v_mul_f64 v[64:65], v[48:49], s[20:21]
	;; [unrolled: 1-line block ×3, first 2 shown]
	v_fma_f64 v[76:77], v[50:51], s[30:31], v[72:73]
	v_fma_f64 v[78:79], v[24:25], s[34:35], v[74:75]
	v_fma_f64 v[72:73], v[50:51], s[30:31], -v[72:73]
	v_fma_f64 v[74:75], v[24:25], s[28:29], v[74:75]
	v_mul_f64 v[48:49], v[48:49], s[36:37]
	v_mul_f64 v[26:27], v[26:27], s[38:39]
	v_add_f64 v[80:81], v[30:31], -v[18:19]
	v_add_f64 v[18:19], v[30:31], v[18:19]
	v_add_f64 v[4:5], v[4:5], v[16:17]
	v_fma_f64 v[62:63], v[24:25], s[22:23], v[54:55]
	v_add_f64 v[30:31], v[0:1], v[72:73]
	v_add_f64 v[72:73], v[2:3], v[74:75]
	v_fma_f64 v[74:75], v[50:51], s[38:39], v[48:49]
	v_fma_f64 v[82:83], v[24:25], s[40:41], v[26:27]
	v_add_f64 v[16:17], v[28:29], -v[16:17]
	v_mul_f64 v[86:87], v[18:19], s[8:9]
	v_fma_f64 v[60:61], v[50:51], s[10:11], v[52:53]
	v_add_f64 v[4:5], v[4:5], v[20:21]
	v_add_f64 v[6:7], v[6:7], v[22:23]
	v_fma_f64 v[20:21], v[50:51], s[10:11], -v[52:53]
	v_fma_f64 v[22:23], v[24:25], s[16:17], v[54:55]
	v_fma_f64 v[52:53], v[50:51], s[8:9], v[56:57]
	;; [unrolled: 1-line block ×3, first 2 shown]
	v_add_f64 v[62:63], v[2:3], v[62:63]
	v_fma_f64 v[56:57], v[50:51], s[8:9], -v[56:57]
	v_fma_f64 v[58:59], v[24:25], s[2:3], v[58:59]
	v_fma_f64 v[68:69], v[50:51], s[24:25], v[64:65]
	;; [unrolled: 1-line block ×3, first 2 shown]
	v_fma_f64 v[64:65], v[50:51], s[24:25], -v[64:65]
	v_fma_f64 v[66:67], v[24:25], s[20:21], v[66:67]
	v_mul_f64 v[28:29], v[80:81], s[2:3]
	v_fma_f64 v[48:49], v[50:51], s[38:39], -v[48:49]
	v_fma_f64 v[24:25], v[24:25], s[36:37], v[26:27]
	v_add_f64 v[26:27], v[0:1], v[74:75]
	v_add_f64 v[50:51], v[2:3], v[82:83]
	v_mul_f64 v[74:75], v[80:81], s[28:29]
	v_mul_f64 v[82:83], v[18:19], s[30:31]
	v_fma_f64 v[90:91], v[16:17], s[18:19], v[86:87]
	v_add_f64 v[60:61], v[0:1], v[60:61]
	v_add_f64 v[20:21], v[0:1], v[20:21]
	;; [unrolled: 1-line block ×13, first 2 shown]
	v_fma_f64 v[88:89], v[84:85], s[8:9], v[28:29]
	v_add_f64 v[0:1], v[0:1], v[48:49]
	v_add_f64 v[2:3], v[2:3], v[24:25]
	v_fma_f64 v[24:25], v[84:85], s[8:9], -v[28:29]
	v_fma_f64 v[28:29], v[16:17], s[2:3], v[86:87]
	v_fma_f64 v[48:49], v[84:85], s[30:31], v[74:75]
	;; [unrolled: 1-line block ×3, first 2 shown]
	v_add_f64 v[62:63], v[90:91], v[62:63]
	v_mul_f64 v[90:91], v[18:19], s[38:39]
	v_add_f64 v[60:61], v[88:89], v[60:61]
	v_mul_f64 v[88:89], v[80:81], s[40:41]
	v_add_f64 v[20:21], v[24:25], v[20:21]
	v_add_f64 v[22:23], v[28:29], v[22:23]
	;; [unrolled: 1-line block ×4, first 2 shown]
	v_fma_f64 v[48:49], v[84:85], s[30:31], -v[74:75]
	v_fma_f64 v[52:53], v[16:17], s[28:29], v[82:83]
	v_fma_f64 v[74:75], v[16:17], s[36:37], v[90:91]
	v_mul_f64 v[82:83], v[80:81], s[26:27]
	v_mul_f64 v[86:87], v[18:19], s[24:25]
	v_fma_f64 v[54:55], v[84:85], s[38:39], v[88:89]
	v_mul_f64 v[80:81], v[80:81], s[22:23]
	v_mul_f64 v[18:19], v[18:19], s[10:11]
	v_add_f64 v[48:49], v[48:49], v[56:57]
	v_add_f64 v[52:53], v[52:53], v[58:59]
	;; [unrolled: 1-line block ×3, first 2 shown]
	v_fma_f64 v[58:59], v[84:85], s[24:25], v[82:83]
	v_fma_f64 v[70:71], v[84:85], s[24:25], -v[82:83]
	v_fma_f64 v[74:75], v[16:17], s[26:27], v[86:87]
	v_add_f64 v[54:55], v[54:55], v[68:69]
	v_fma_f64 v[68:69], v[16:17], s[20:21], v[86:87]
	v_fma_f64 v[90:91], v[16:17], s[40:41], v[90:91]
	v_fma_f64 v[88:89], v[84:85], s[38:39], -v[88:89]
	v_add_f64 v[58:59], v[58:59], v[76:77]
	v_add_f64 v[76:77], v[36:37], -v[14:15]
	v_add_f64 v[14:15], v[36:37], v[14:15]
	v_add_f64 v[30:31], v[70:71], v[30:31]
	;; [unrolled: 1-line block ×3, first 2 shown]
	v_fma_f64 v[70:71], v[84:85], s[10:11], v[80:81]
	v_fma_f64 v[72:73], v[16:17], s[16:17], v[18:19]
	v_add_f64 v[68:69], v[68:69], v[78:79]
	v_add_f64 v[74:75], v[34:35], v[12:13]
	v_add_f64 v[12:13], v[34:35], -v[12:13]
	v_mul_f64 v[34:35], v[76:77], s[20:21]
	v_mul_f64 v[78:79], v[14:15], s[24:25]
	v_fma_f64 v[16:17], v[16:17], s[22:23], v[18:19]
	v_add_f64 v[18:19], v[70:71], v[26:27]
	v_add_f64 v[26:27], v[72:73], v[50:51]
	v_mul_f64 v[50:51], v[76:77], s[40:41]
	v_fma_f64 v[80:81], v[84:85], s[10:11], -v[80:81]
	v_mul_f64 v[70:71], v[14:15], s[38:39]
	v_fma_f64 v[72:73], v[74:75], s[24:25], v[34:35]
	v_fma_f64 v[82:83], v[12:13], s[26:27], v[78:79]
	v_add_f64 v[2:3], v[16:17], v[2:3]
	v_fma_f64 v[16:17], v[74:75], s[24:25], -v[34:35]
	v_fma_f64 v[34:35], v[12:13], s[20:21], v[78:79]
	v_fma_f64 v[78:79], v[74:75], s[38:39], v[50:51]
	v_add_f64 v[0:1], v[80:81], v[0:1]
	v_fma_f64 v[80:81], v[12:13], s[36:37], v[70:71]
	v_add_f64 v[60:61], v[72:73], v[60:61]
	v_add_f64 v[62:63], v[82:83], v[62:63]
	v_mul_f64 v[72:73], v[76:77], s[18:19]
	v_mul_f64 v[82:83], v[14:15], s[8:9]
	v_add_f64 v[16:17], v[16:17], v[20:21]
	v_add_f64 v[20:21], v[34:35], v[22:23]
	;; [unrolled: 1-line block ×3, first 2 shown]
	v_fma_f64 v[34:35], v[12:13], s[40:41], v[70:71]
	v_mul_f64 v[78:79], v[76:77], s[16:17]
	v_add_f64 v[24:25], v[80:81], v[28:29]
	v_fma_f64 v[28:29], v[74:75], s[38:39], -v[50:51]
	v_fma_f64 v[50:51], v[74:75], s[8:9], v[72:73]
	v_fma_f64 v[70:71], v[12:13], s[2:3], v[82:83]
	v_mul_f64 v[80:81], v[14:15], s[10:11]
	v_add_f64 v[64:65], v[88:89], v[64:65]
	v_add_f64 v[34:35], v[34:35], v[52:53]
	v_fma_f64 v[52:53], v[74:75], s[10:11], v[78:79]
	v_add_f64 v[66:67], v[90:91], v[66:67]
	v_fma_f64 v[72:73], v[74:75], s[8:9], -v[72:73]
	v_fma_f64 v[82:83], v[12:13], s[18:19], v[82:83]
	v_add_f64 v[28:29], v[28:29], v[48:49]
	v_add_f64 v[48:49], v[50:51], v[54:55]
	;; [unrolled: 1-line block ×3, first 2 shown]
	v_fma_f64 v[54:55], v[12:13], s[22:23], v[80:81]
	v_mul_f64 v[14:15], v[14:15], s[30:31]
	v_fma_f64 v[70:71], v[74:75], s[10:11], -v[78:79]
	v_add_f64 v[52:53], v[52:53], v[58:59]
	v_add_f64 v[58:59], v[38:39], -v[10:11]
	v_add_f64 v[56:57], v[72:73], v[64:65]
	v_add_f64 v[64:65], v[82:83], v[66:67]
	v_mul_f64 v[66:67], v[76:77], s[28:29]
	v_fma_f64 v[72:73], v[12:13], s[16:17], v[80:81]
	v_add_f64 v[54:55], v[54:55], v[68:69]
	v_add_f64 v[10:11], v[38:39], v[10:11]
	v_fma_f64 v[68:69], v[12:13], s[34:35], v[14:15]
	v_add_f64 v[30:31], v[70:71], v[30:31]
	v_add_f64 v[70:71], v[32:33], v[8:9]
	v_add_f64 v[8:9], v[32:33], -v[8:9]
	v_mul_f64 v[32:33], v[58:59], s[28:29]
	v_fma_f64 v[38:39], v[74:75], s[30:31], v[66:67]
	v_add_f64 v[36:37], v[72:73], v[36:37]
	v_mul_f64 v[72:73], v[10:11], s[30:31]
	v_add_f64 v[26:27], v[68:69], v[26:27]
	v_fma_f64 v[12:13], v[12:13], s[28:29], v[14:15]
	v_mul_f64 v[14:15], v[58:59], s[26:27]
	v_fma_f64 v[68:69], v[70:71], s[30:31], v[32:33]
	v_fma_f64 v[32:33], v[70:71], s[30:31], -v[32:33]
	v_add_f64 v[18:19], v[38:39], v[18:19]
	v_fma_f64 v[38:39], v[74:75], s[30:31], -v[66:67]
	v_mul_f64 v[66:67], v[10:11], s[24:25]
	v_fma_f64 v[74:75], v[8:9], s[34:35], v[72:73]
	v_fma_f64 v[72:73], v[8:9], s[28:29], v[72:73]
	v_add_f64 v[2:3], v[12:13], v[2:3]
	v_add_f64 v[60:61], v[68:69], v[60:61]
	;; [unrolled: 1-line block ×3, first 2 shown]
	v_mul_f64 v[32:33], v[58:59], s[16:17]
	v_mul_f64 v[68:69], v[10:11], s[10:11]
	v_add_f64 v[0:1], v[38:39], v[0:1]
	v_fma_f64 v[12:13], v[70:71], s[24:25], v[14:15]
	v_fma_f64 v[38:39], v[8:9], s[20:21], v[66:67]
	v_add_f64 v[62:63], v[74:75], v[62:63]
	v_add_f64 v[20:21], v[72:73], v[20:21]
	v_fma_f64 v[14:15], v[70:71], s[24:25], -v[14:15]
	v_fma_f64 v[72:73], v[70:71], s[10:11], v[32:33]
	v_fma_f64 v[74:75], v[8:9], s[22:23], v[68:69]
	v_fma_f64 v[32:33], v[70:71], s[10:11], -v[32:33]
	v_fma_f64 v[68:69], v[8:9], s[16:17], v[68:69]
	v_add_f64 v[12:13], v[12:13], v[22:23]
	v_add_f64 v[22:23], v[38:39], v[24:25]
	v_mul_f64 v[24:25], v[58:59], s[36:37]
	v_mul_f64 v[38:39], v[10:11], s[38:39]
	v_fma_f64 v[66:67], v[8:9], s[26:27], v[66:67]
	v_add_f64 v[28:29], v[14:15], v[28:29]
	v_add_f64 v[32:33], v[32:33], v[56:57]
	;; [unrolled: 1-line block ×3, first 2 shown]
	v_add_f64 v[64:65], v[42:43], -v[46:47]
	v_add_f64 v[42:43], v[42:43], v[46:47]
	v_mul_f64 v[14:15], v[58:59], s[18:19]
	v_mul_f64 v[10:11], v[10:11], s[8:9]
	v_fma_f64 v[76:77], v[70:71], s[38:39], v[24:25]
	v_fma_f64 v[78:79], v[8:9], s[40:41], v[38:39]
	v_add_f64 v[34:35], v[66:67], v[34:35]
	v_fma_f64 v[24:25], v[70:71], s[38:39], -v[24:25]
	v_fma_f64 v[38:39], v[8:9], s[36:37], v[38:39]
	v_add_f64 v[46:47], v[40:41], v[44:45]
	v_add_f64 v[40:41], v[40:41], -v[44:45]
	v_mul_f64 v[44:45], v[64:65], s[36:37]
	v_mul_f64 v[58:59], v[42:43], s[38:39]
	v_fma_f64 v[66:67], v[70:71], s[8:9], v[14:15]
	v_fma_f64 v[68:69], v[8:9], s[2:3], v[10:11]
	v_add_f64 v[48:49], v[72:73], v[48:49]
	v_add_f64 v[50:51], v[74:75], v[50:51]
	;; [unrolled: 1-line block ×4, first 2 shown]
	v_fma_f64 v[14:15], v[70:71], s[8:9], -v[14:15]
	v_fma_f64 v[8:9], v[8:9], s[18:19], v[10:11]
	v_fma_f64 v[10:11], v[46:47], s[38:39], v[44:45]
	;; [unrolled: 1-line block ×3, first 2 shown]
	v_add_f64 v[36:37], v[66:67], v[18:19]
	v_add_f64 v[38:39], v[68:69], v[26:27]
	v_mul_f64 v[18:19], v[64:65], s[22:23]
	v_mul_f64 v[26:27], v[42:43], s[10:11]
	v_add_f64 v[66:67], v[14:15], v[0:1]
	v_add_f64 v[68:69], v[8:9], v[2:3]
	;; [unrolled: 1-line block ×4, first 2 shown]
	v_fma_f64 v[8:9], v[46:47], s[38:39], -v[44:45]
	v_fma_f64 v[10:11], v[40:41], s[36:37], v[58:59]
	v_fma_f64 v[14:15], v[46:47], s[10:11], v[18:19]
	;; [unrolled: 1-line block ×3, first 2 shown]
	v_mul_f64 v[30:31], v[64:65], s[28:29]
	v_fma_f64 v[18:19], v[46:47], s[10:11], -v[18:19]
	v_fma_f64 v[26:27], v[40:41], s[22:23], v[26:27]
	v_mul_f64 v[44:45], v[42:43], s[30:31]
	v_add_f64 v[8:9], v[8:9], v[16:17]
	v_add_f64 v[10:11], v[10:11], v[20:21]
	;; [unrolled: 1-line block ×4, first 2 shown]
	v_fma_f64 v[20:21], v[46:47], s[30:31], v[30:31]
	v_add_f64 v[16:17], v[18:19], v[28:29]
	v_fma_f64 v[24:25], v[46:47], s[30:31], -v[30:31]
	v_mul_f64 v[28:29], v[64:65], s[18:19]
	v_mul_f64 v[30:31], v[42:43], s[8:9]
	v_add_f64 v[18:19], v[26:27], v[34:35]
	v_fma_f64 v[22:23], v[40:41], s[34:35], v[44:45]
	v_fma_f64 v[26:27], v[40:41], s[28:29], v[44:45]
	v_mul_f64 v[34:35], v[64:65], s[20:21]
	v_mul_f64 v[42:43], v[42:43], s[24:25]
	v_add_f64 v[52:53], v[76:77], v[52:53]
	v_add_f64 v[54:55], v[78:79], v[54:55]
	;; [unrolled: 1-line block ×3, first 2 shown]
	v_fma_f64 v[32:33], v[46:47], s[8:9], v[28:29]
	v_fma_f64 v[44:45], v[40:41], s[2:3], v[30:31]
	v_add_f64 v[22:23], v[22:23], v[50:51]
	v_add_f64 v[26:27], v[26:27], v[56:57]
	v_fma_f64 v[50:51], v[46:47], s[24:25], v[34:35]
	v_fma_f64 v[56:57], v[40:41], s[26:27], v[42:43]
	v_fma_f64 v[34:35], v[46:47], s[24:25], -v[34:35]
	v_fma_f64 v[42:43], v[40:41], s[20:21], v[42:43]
	v_add_f64 v[20:21], v[20:21], v[48:49]
	v_fma_f64 v[48:49], v[46:47], s[8:9], -v[28:29]
	v_fma_f64 v[46:47], v[40:41], s[18:19], v[30:31]
	v_add_f64 v[28:29], v[32:33], v[52:53]
	v_add_f64 v[30:31], v[44:45], v[54:55]
	v_add_f64 v[36:37], v[50:51], v[36:37]
	v_add_f64 v[38:39], v[56:57], v[38:39]
	v_add_f64 v[40:41], v[34:35], v[66:67]
	v_add_f64 v[42:43], v[42:43], v[68:69]
	v_add_f64 v[32:33], v[48:49], v[72:73]
	v_add_f64 v[34:35], v[46:47], v[74:75]
	ds_write_b128 v203, v[4:7]
	ds_write_b128 v203, v[0:3] offset:2288
	ds_write_b128 v203, v[12:15] offset:4576
	;; [unrolled: 1-line block ×10, first 2 shown]
	s_waitcnt lgkmcnt(0)
	s_barrier
	s_and_b64 exec, exec, s[0:1]
	s_cbranch_execz .LBB0_15
; %bb.14:
	global_load_dwordx4 v[0:3], v203, s[14:15]
	global_load_dwordx4 v[4:7], v203, s[14:15] offset:1936
	v_mov_b32_e32 v12, s15
	v_add_co_u32_e32 v82, vcc, s14, v203
	s_movk_i32 s0, 0x1000
	v_addc_co_u32_e32 v83, vcc, 0, v12, vcc
	v_add_co_u32_e32 v16, vcc, s0, v82
	v_addc_co_u32_e32 v17, vcc, 0, v83, vcc
	global_load_dwordx4 v[8:11], v203, s[14:15] offset:3872
	global_load_dwordx4 v[12:15], v[16:17], off offset:1712
	v_mad_u64_u32 v[74:75], s[2:3], s4, v204, 0
	global_load_dwordx4 v[16:19], v[16:17], off offset:3648
	v_mad_u64_u32 v[72:73], s[0:1], s6, v250, 0
	s_mul_hi_u32 s6, s4, 0x790
	s_mul_i32 s2, s4, 0x790
	s_movk_i32 s4, 0x2000
	v_add_co_u32_e32 v64, vcc, s4, v82
	v_addc_co_u32_e32 v65, vcc, 0, v83, vcc
	ds_read_b128 v[20:23], v203
	ds_read_b128 v[24:27], v203 offset:1936
	ds_read_b128 v[28:31], v203 offset:3872
	;; [unrolled: 1-line block ×5, first 2 shown]
	global_load_dwordx4 v[48:51], v[64:65], off offset:1488
	s_movk_i32 s8, 0x3000
	v_add_co_u32_e32 v66, vcc, s8, v82
	ds_read_b128 v[44:47], v203 offset:23232
	v_addc_co_u32_e32 v67, vcc, 0, v83, vcc
	global_load_dwordx4 v[52:55], v[64:65], off offset:3424
	global_load_dwordx4 v[56:59], v[66:67], off offset:1264
	;; [unrolled: 1-line block ×3, first 2 shown]
	s_mul_i32 s3, s5, 0x790
	v_mov_b32_e32 v64, v73
	v_mov_b32_e32 v65, v75
	s_add_i32 s3, s6, s3
	v_mad_u64_u32 v[78:79], s[6:7], s7, v250, v[64:65]
	v_mad_u64_u32 v[79:80], s[4:5], s5, v204, v[65:66]
	s_movk_i32 s9, 0x4000
	v_mov_b32_e32 v73, v78
	v_add_co_u32_e32 v76, vcc, s9, v82
	v_lshlrev_b64 v[72:73], 4, v[72:73]
	v_addc_co_u32_e32 v77, vcc, 0, v83, vcc
	v_mov_b32_e32 v75, v79
	v_mov_b32_e32 v81, s13
	v_lshlrev_b64 v[74:75], 4, v[74:75]
	v_add_co_u32_e32 v72, vcc, s12, v72
	v_addc_co_u32_e32 v73, vcc, v81, v73, vcc
	v_add_co_u32_e32 v72, vcc, v72, v74
	v_addc_co_u32_e32 v73, vcc, v73, v75, vcc
	global_load_dwordx4 v[64:67], v[76:77], off offset:1040
	global_load_dwordx4 v[68:71], v[76:77], off offset:2976
	s_mov_b32 s0, 0x49b95e3b
	s_mov_b32 s1, 0x3f44d4df
	v_mov_b32_e32 v84, s3
	v_add_co_u32_e32 v78, vcc, s2, v72
	s_movk_i32 s10, 0x5000
	v_addc_co_u32_e32 v79, vcc, v73, v84, vcc
	v_mov_b32_e32 v85, s3
	s_waitcnt vmcnt(10) lgkmcnt(6)
	v_mul_f64 v[74:75], v[22:23], v[2:3]
	v_mul_f64 v[2:3], v[20:21], v[2:3]
	s_waitcnt vmcnt(9) lgkmcnt(5)
	v_mul_f64 v[76:77], v[26:27], v[6:7]
	v_mul_f64 v[6:7], v[24:25], v[6:7]
	v_fma_f64 v[20:21], v[20:21], v[0:1], v[74:75]
	v_fma_f64 v[2:3], v[0:1], v[22:23], -v[2:3]
	v_fma_f64 v[22:23], v[24:25], v[4:5], v[76:77]
	v_fma_f64 v[6:7], v[4:5], v[26:27], -v[6:7]
	s_waitcnt vmcnt(8) lgkmcnt(4)
	v_mul_f64 v[80:81], v[30:31], v[10:11]
	s_waitcnt vmcnt(7) lgkmcnt(3)
	v_mul_f64 v[24:25], v[34:35], v[14:15]
	v_mul_f64 v[10:11], v[28:29], v[10:11]
	;; [unrolled: 1-line block ×7, first 2 shown]
	v_fma_f64 v[26:27], v[28:29], v[8:9], v[80:81]
	v_fma_f64 v[22:23], v[32:33], v[12:13], v[24:25]
	v_add_co_u32_e32 v24, vcc, s10, v82
	global_store_dwordx4 v[72:73], v[0:3], off
	global_store_dwordx4 v[78:79], v[4:7], off
	v_addc_co_u32_e32 v25, vcc, 0, v83, vcc
	global_load_dwordx4 v[0:3], v[24:25], off offset:816
	v_fma_f64 v[10:11], v[8:9], v[30:31], -v[10:11]
	s_waitcnt vmcnt(9) lgkmcnt(2)
	v_mul_f64 v[20:21], v[38:39], v[18:19]
	v_mul_f64 v[18:19], v[36:37], v[18:19]
	v_fma_f64 v[12:13], v[12:13], v[34:35], -v[14:15]
	v_mul_f64 v[8:9], v[26:27], s[0:1]
	v_add_co_u32_e32 v14, vcc, s2, v78
	v_addc_co_u32_e32 v15, vcc, v79, v85, vcc
	v_mul_f64 v[10:11], v[10:11], s[0:1]
	v_mul_f64 v[4:5], v[22:23], s[0:1]
	v_mul_f64 v[6:7], v[12:13], s[0:1]
	s_waitcnt vmcnt(8) lgkmcnt(1)
	v_mul_f64 v[12:13], v[42:43], v[50:51]
	v_mov_b32_e32 v22, s3
	v_mov_b32_e32 v28, s3
	global_store_dwordx4 v[14:15], v[8:11], off
	s_nop 0
	v_fma_f64 v[8:9], v[36:37], v[16:17], v[20:21]
	v_fma_f64 v[10:11], v[16:17], v[38:39], -v[18:19]
	v_mul_f64 v[16:17], v[40:41], v[50:51]
	v_add_co_u32_e32 v18, vcc, s2, v14
	v_addc_co_u32_e32 v19, vcc, v15, v22, vcc
	global_store_dwordx4 v[18:19], v[4:7], off
	v_fma_f64 v[20:21], v[40:41], v[48:49], v[12:13]
	v_mul_f64 v[4:5], v[8:9], s[0:1]
	v_mul_f64 v[6:7], v[10:11], s[0:1]
	ds_read_b128 v[8:11], v203 offset:11616
	ds_read_b128 v[12:15], v203 offset:13552
	v_fma_f64 v[16:17], v[48:49], v[42:43], -v[16:17]
	v_add_co_u32_e32 v18, vcc, s2, v18
	s_waitcnt vmcnt(9) lgkmcnt(1)
	v_mul_f64 v[22:23], v[10:11], v[54:55]
	v_mul_f64 v[26:27], v[8:9], v[54:55]
	v_addc_co_u32_e32 v19, vcc, v19, v28, vcc
	global_store_dwordx4 v[18:19], v[4:7], off
	v_add_co_u32_e32 v18, vcc, s2, v18
	v_mul_f64 v[4:5], v[20:21], s[0:1]
	v_mul_f64 v[6:7], v[16:17], s[0:1]
	v_fma_f64 v[8:9], v[8:9], v[52:53], v[22:23]
	v_fma_f64 v[10:11], v[52:53], v[10:11], -v[26:27]
	s_waitcnt vmcnt(9) lgkmcnt(0)
	v_mul_f64 v[16:17], v[14:15], v[58:59]
	v_mul_f64 v[20:21], v[12:13], v[58:59]
	v_addc_co_u32_e32 v19, vcc, v19, v28, vcc
	global_store_dwordx4 v[18:19], v[4:7], off
	s_nop 0
	v_mul_f64 v[4:5], v[8:9], s[0:1]
	v_mul_f64 v[6:7], v[10:11], s[0:1]
	ds_read_b128 v[8:11], v203 offset:15488
	v_fma_f64 v[16:17], v[12:13], v[56:57], v[16:17]
	v_fma_f64 v[20:21], v[56:57], v[14:15], -v[20:21]
	ds_read_b128 v[12:15], v203 offset:17424
	v_add_co_u32_e32 v18, vcc, s2, v18
	s_waitcnt vmcnt(9) lgkmcnt(1)
	v_mul_f64 v[22:23], v[10:11], v[62:63]
	v_mul_f64 v[26:27], v[8:9], v[62:63]
	v_addc_co_u32_e32 v19, vcc, v19, v28, vcc
	global_store_dwordx4 v[18:19], v[4:7], off
	v_add_co_u32_e32 v18, vcc, s2, v18
	v_mul_f64 v[4:5], v[16:17], s[0:1]
	v_mul_f64 v[6:7], v[20:21], s[0:1]
	v_fma_f64 v[8:9], v[8:9], v[60:61], v[22:23]
	v_fma_f64 v[10:11], v[60:61], v[10:11], -v[26:27]
	s_waitcnt vmcnt(9) lgkmcnt(0)
	v_mul_f64 v[16:17], v[14:15], v[66:67]
	v_mul_f64 v[20:21], v[12:13], v[66:67]
	v_addc_co_u32_e32 v19, vcc, v19, v28, vcc
	v_mov_b32_e32 v22, s3
	global_store_dwordx4 v[18:19], v[4:7], off
	v_add_co_u32_e32 v18, vcc, s2, v18
	v_mul_f64 v[4:5], v[8:9], s[0:1]
	v_mul_f64 v[6:7], v[10:11], s[0:1]
	v_fma_f64 v[16:17], v[12:13], v[64:65], v[16:17]
	v_fma_f64 v[20:21], v[64:65], v[14:15], -v[20:21]
	ds_read_b128 v[8:11], v203 offset:19360
	ds_read_b128 v[12:15], v203 offset:21296
	v_addc_co_u32_e32 v19, vcc, v19, v22, vcc
	s_waitcnt vmcnt(9) lgkmcnt(1)
	v_mul_f64 v[22:23], v[10:11], v[70:71]
	v_mul_f64 v[26:27], v[8:9], v[70:71]
	s_waitcnt vmcnt(6) lgkmcnt(0)
	v_mul_f64 v[28:29], v[14:15], v[2:3]
	v_mul_f64 v[30:31], v[12:13], v[2:3]
	global_store_dwordx4 v[18:19], v[4:7], off
	v_mul_f64 v[2:3], v[16:17], s[0:1]
	v_mul_f64 v[4:5], v[20:21], s[0:1]
	v_mov_b32_e32 v16, s3
	v_fma_f64 v[6:7], v[8:9], v[68:69], v[22:23]
	v_fma_f64 v[8:9], v[68:69], v[10:11], -v[26:27]
	v_fma_f64 v[10:11], v[12:13], v[0:1], v[28:29]
	v_fma_f64 v[12:13], v[0:1], v[14:15], -v[30:31]
	v_add_co_u32_e32 v14, vcc, s2, v18
	v_addc_co_u32_e32 v15, vcc, v19, v16, vcc
	global_store_dwordx4 v[14:15], v[2:5], off
	v_mul_f64 v[0:1], v[6:7], s[0:1]
	v_mul_f64 v[2:3], v[8:9], s[0:1]
	v_mul_f64 v[4:5], v[10:11], s[0:1]
	v_mul_f64 v[6:7], v[12:13], s[0:1]
	v_mov_b32_e32 v9, s3
	v_add_co_u32_e32 v8, vcc, s2, v14
	v_addc_co_u32_e32 v9, vcc, v15, v9, vcc
	global_store_dwordx4 v[8:9], v[0:3], off
	v_add_co_u32_e32 v8, vcc, s2, v8
	v_mov_b32_e32 v0, s3
	v_addc_co_u32_e32 v9, vcc, v9, v0, vcc
	global_store_dwordx4 v[8:9], v[4:7], off
	global_load_dwordx4 v[0:3], v[24:25], off offset:2752
	s_waitcnt vmcnt(0)
	v_mul_f64 v[4:5], v[46:47], v[2:3]
	v_mul_f64 v[2:3], v[44:45], v[2:3]
	v_fma_f64 v[4:5], v[44:45], v[0:1], v[4:5]
	v_fma_f64 v[2:3], v[0:1], v[46:47], -v[2:3]
	v_mul_f64 v[0:1], v[4:5], s[0:1]
	v_mul_f64 v[2:3], v[2:3], s[0:1]
	v_mov_b32_e32 v5, s3
	v_add_co_u32_e32 v4, vcc, s2, v8
	v_addc_co_u32_e32 v5, vcc, v9, v5, vcc
	global_store_dwordx4 v[4:5], v[0:3], off
.LBB0_15:
	s_endpgm
	.section	.rodata,"a",@progbits
	.p2align	6, 0x0
	.amdhsa_kernel bluestein_single_fwd_len1573_dim1_dp_op_CI_CI
		.amdhsa_group_segment_fixed_size 25168
		.amdhsa_private_segment_fixed_size 20
		.amdhsa_kernarg_size 104
		.amdhsa_user_sgpr_count 6
		.amdhsa_user_sgpr_private_segment_buffer 1
		.amdhsa_user_sgpr_dispatch_ptr 0
		.amdhsa_user_sgpr_queue_ptr 0
		.amdhsa_user_sgpr_kernarg_segment_ptr 1
		.amdhsa_user_sgpr_dispatch_id 0
		.amdhsa_user_sgpr_flat_scratch_init 0
		.amdhsa_user_sgpr_private_segment_size 0
		.amdhsa_uses_dynamic_stack 0
		.amdhsa_system_sgpr_private_segment_wavefront_offset 1
		.amdhsa_system_sgpr_workgroup_id_x 1
		.amdhsa_system_sgpr_workgroup_id_y 0
		.amdhsa_system_sgpr_workgroup_id_z 0
		.amdhsa_system_sgpr_workgroup_info 0
		.amdhsa_system_vgpr_workitem_id 0
		.amdhsa_next_free_vgpr 256
		.amdhsa_next_free_sgpr 56
		.amdhsa_reserve_vcc 1
		.amdhsa_reserve_flat_scratch 0
		.amdhsa_float_round_mode_32 0
		.amdhsa_float_round_mode_16_64 0
		.amdhsa_float_denorm_mode_32 3
		.amdhsa_float_denorm_mode_16_64 3
		.amdhsa_dx10_clamp 1
		.amdhsa_ieee_mode 1
		.amdhsa_fp16_overflow 0
		.amdhsa_exception_fp_ieee_invalid_op 0
		.amdhsa_exception_fp_denorm_src 0
		.amdhsa_exception_fp_ieee_div_zero 0
		.amdhsa_exception_fp_ieee_overflow 0
		.amdhsa_exception_fp_ieee_underflow 0
		.amdhsa_exception_fp_ieee_inexact 0
		.amdhsa_exception_int_div_zero 0
	.end_amdhsa_kernel
	.text
.Lfunc_end0:
	.size	bluestein_single_fwd_len1573_dim1_dp_op_CI_CI, .Lfunc_end0-bluestein_single_fwd_len1573_dim1_dp_op_CI_CI
                                        ; -- End function
	.section	.AMDGPU.csdata,"",@progbits
; Kernel info:
; codeLenInByte = 23592
; NumSgprs: 60
; NumVgprs: 256
; ScratchSize: 20
; MemoryBound: 0
; FloatMode: 240
; IeeeMode: 1
; LDSByteSize: 25168 bytes/workgroup (compile time only)
; SGPRBlocks: 7
; VGPRBlocks: 63
; NumSGPRsForWavesPerEU: 60
; NumVGPRsForWavesPerEU: 256
; Occupancy: 1
; WaveLimiterHint : 1
; COMPUTE_PGM_RSRC2:SCRATCH_EN: 1
; COMPUTE_PGM_RSRC2:USER_SGPR: 6
; COMPUTE_PGM_RSRC2:TRAP_HANDLER: 0
; COMPUTE_PGM_RSRC2:TGID_X_EN: 1
; COMPUTE_PGM_RSRC2:TGID_Y_EN: 0
; COMPUTE_PGM_RSRC2:TGID_Z_EN: 0
; COMPUTE_PGM_RSRC2:TIDIG_COMP_CNT: 0
	.type	__hip_cuid_fa21541b03aeba05,@object ; @__hip_cuid_fa21541b03aeba05
	.section	.bss,"aw",@nobits
	.globl	__hip_cuid_fa21541b03aeba05
__hip_cuid_fa21541b03aeba05:
	.byte	0                               ; 0x0
	.size	__hip_cuid_fa21541b03aeba05, 1

	.ident	"AMD clang version 19.0.0git (https://github.com/RadeonOpenCompute/llvm-project roc-6.4.0 25133 c7fe45cf4b819c5991fe208aaa96edf142730f1d)"
	.section	".note.GNU-stack","",@progbits
	.addrsig
	.addrsig_sym __hip_cuid_fa21541b03aeba05
	.amdgpu_metadata
---
amdhsa.kernels:
  - .args:
      - .actual_access:  read_only
        .address_space:  global
        .offset:         0
        .size:           8
        .value_kind:     global_buffer
      - .actual_access:  read_only
        .address_space:  global
        .offset:         8
        .size:           8
        .value_kind:     global_buffer
      - .actual_access:  read_only
        .address_space:  global
        .offset:         16
        .size:           8
        .value_kind:     global_buffer
      - .actual_access:  read_only
        .address_space:  global
        .offset:         24
        .size:           8
        .value_kind:     global_buffer
      - .actual_access:  read_only
        .address_space:  global
        .offset:         32
        .size:           8
        .value_kind:     global_buffer
      - .offset:         40
        .size:           8
        .value_kind:     by_value
      - .address_space:  global
        .offset:         48
        .size:           8
        .value_kind:     global_buffer
      - .address_space:  global
        .offset:         56
        .size:           8
        .value_kind:     global_buffer
      - .address_space:  global
        .offset:         64
        .size:           8
        .value_kind:     global_buffer
      - .address_space:  global
        .offset:         72
        .size:           8
        .value_kind:     global_buffer
      - .offset:         80
        .size:           4
        .value_kind:     by_value
      - .address_space:  global
        .offset:         88
        .size:           8
        .value_kind:     global_buffer
      - .address_space:  global
        .offset:         96
        .size:           8
        .value_kind:     global_buffer
    .group_segment_fixed_size: 25168
    .kernarg_segment_align: 8
    .kernarg_segment_size: 104
    .language:       OpenCL C
    .language_version:
      - 2
      - 0
    .max_flat_workgroup_size: 143
    .name:           bluestein_single_fwd_len1573_dim1_dp_op_CI_CI
    .private_segment_fixed_size: 20
    .sgpr_count:     60
    .sgpr_spill_count: 0
    .symbol:         bluestein_single_fwd_len1573_dim1_dp_op_CI_CI.kd
    .uniform_work_group_size: 1
    .uses_dynamic_stack: false
    .vgpr_count:     256
    .vgpr_spill_count: 4
    .wavefront_size: 64
amdhsa.target:   amdgcn-amd-amdhsa--gfx906
amdhsa.version:
  - 1
  - 2
...

	.end_amdgpu_metadata
